;; amdgpu-corpus repo=ROCm/rocFFT kind=compiled arch=gfx906 opt=O3
	.text
	.amdgcn_target "amdgcn-amd-amdhsa--gfx906"
	.amdhsa_code_object_version 6
	.protected	bluestein_single_fwd_len385_dim1_sp_op_CI_CI ; -- Begin function bluestein_single_fwd_len385_dim1_sp_op_CI_CI
	.globl	bluestein_single_fwd_len385_dim1_sp_op_CI_CI
	.p2align	8
	.type	bluestein_single_fwd_len385_dim1_sp_op_CI_CI,@function
bluestein_single_fwd_len385_dim1_sp_op_CI_CI: ; @bluestein_single_fwd_len385_dim1_sp_op_CI_CI
; %bb.0:
	s_load_dwordx4 s[0:3], s[4:5], 0x28
	v_mul_u32_u24_e32 v1, 0x4a8, v0
	v_add_u32_sdwa v48, s6, v1 dst_sel:DWORD dst_unused:UNUSED_PAD src0_sel:DWORD src1_sel:WORD_1
	v_mov_b32_e32 v49, 0
	s_waitcnt lgkmcnt(0)
	v_cmp_gt_u64_e32 vcc, s[0:1], v[48:49]
	s_and_saveexec_b64 s[0:1], vcc
	s_cbranch_execz .LBB0_23
; %bb.1:
	s_load_dwordx2 s[8:9], s[4:5], 0x0
	s_load_dwordx2 s[10:11], s[4:5], 0x38
	v_mov_b32_e32 v2, 55
	v_mul_lo_u16_sdwa v1, v1, v2 dst_sel:DWORD dst_unused:UNUSED_PAD src0_sel:WORD_1 src1_sel:DWORD
	v_sub_u16_e32 v58, v0, v1
	v_cmp_gt_u16_e32 vcc, 35, v58
	v_lshlrev_b32_e32 v57, 3, v58
	s_and_saveexec_b64 s[6:7], vcc
	s_cbranch_execz .LBB0_3
; %bb.2:
	s_load_dwordx2 s[0:1], s[4:5], 0x18
	s_waitcnt lgkmcnt(0)
	s_load_dwordx4 s[12:15], s[0:1], 0x0
	s_waitcnt lgkmcnt(0)
	v_mad_u64_u32 v[0:1], s[0:1], s14, v48, 0
	v_mad_u64_u32 v[2:3], s[0:1], s12, v58, 0
	;; [unrolled: 1-line block ×4, first 2 shown]
	v_mov_b32_e32 v1, v4
	v_lshlrev_b64 v[0:1], 3, v[0:1]
	v_mov_b32_e32 v3, v5
	v_mov_b32_e32 v6, s3
	v_lshlrev_b64 v[2:3], 3, v[2:3]
	v_add_co_u32_e64 v0, s[0:1], s2, v0
	v_addc_co_u32_e64 v1, s[0:1], v6, v1, s[0:1]
	v_add_co_u32_e64 v0, s[0:1], v0, v2
	v_addc_co_u32_e64 v1, s[0:1], v1, v3, s[0:1]
	s_mul_i32 s0, s13, 0x118
	s_mul_hi_u32 s3, s12, 0x118
	s_add_i32 s3, s3, s0
	s_mul_i32 s2, s12, 0x118
	v_mov_b32_e32 v3, s3
	v_add_co_u32_e64 v2, s[0:1], s2, v0
	v_addc_co_u32_e64 v3, s[0:1], v1, v3, s[0:1]
	v_mov_b32_e32 v13, s3
	v_add_co_u32_e64 v12, s[0:1], s2, v2
	v_addc_co_u32_e64 v13, s[0:1], v3, v13, s[0:1]
	;; [unrolled: 3-line block ×3, first 2 shown]
	global_load_dwordx2 v[4:5], v57, s[8:9]
	global_load_dwordx2 v[6:7], v57, s[8:9] offset:280
	global_load_dwordx2 v[8:9], v57, s[8:9] offset:560
	;; [unrolled: 1-line block ×3, first 2 shown]
	global_load_dwordx2 v[16:17], v[0:1], off
	global_load_dwordx2 v[18:19], v[2:3], off
	;; [unrolled: 1-line block ×4, first 2 shown]
	global_load_dwordx2 v[24:25], v57, s[8:9] offset:1120
	global_load_dwordx2 v[26:27], v57, s[8:9] offset:1400
	;; [unrolled: 1-line block ×5, first 2 shown]
	v_mov_b32_e32 v1, s3
	v_add_co_u32_e64 v0, s[0:1], s2, v14
	v_addc_co_u32_e64 v1, s[0:1], v15, v1, s[0:1]
	v_mov_b32_e32 v3, s3
	v_add_co_u32_e64 v2, s[0:1], s2, v0
	v_addc_co_u32_e64 v3, s[0:1], v1, v3, s[0:1]
	;; [unrolled: 3-line block ×3, first 2 shown]
	v_mov_b32_e32 v34, s3
	global_load_dwordx2 v[0:1], v[0:1], off
	v_add_co_u32_e64 v14, s[0:1], s2, v12
	v_addc_co_u32_e64 v15, s[0:1], v13, v34, s[0:1]
	v_mov_b32_e32 v38, s3
	global_load_dwordx2 v[2:3], v[2:3], off
	s_nop 0
	global_load_dwordx2 v[34:35], v[12:13], off
	global_load_dwordx2 v[36:37], v[14:15], off
	v_add_co_u32_e64 v12, s[0:1], s2, v14
	v_addc_co_u32_e64 v13, s[0:1], v15, v38, s[0:1]
	v_mov_b32_e32 v39, s3
	global_load_dwordx2 v[14:15], v[12:13], off
	v_add_co_u32_e64 v12, s[0:1], s2, v12
	v_addc_co_u32_e64 v13, s[0:1], v13, v39, s[0:1]
	global_load_dwordx2 v[38:39], v[12:13], off
	global_load_dwordx2 v[40:41], v57, s[8:9] offset:2520
	v_mov_b32_e32 v42, s3
	v_add_co_u32_e64 v12, s[0:1], s2, v12
	v_addc_co_u32_e64 v13, s[0:1], v13, v42, s[0:1]
	global_load_dwordx2 v[42:43], v57, s[8:9] offset:2800
	global_load_dwordx2 v[44:45], v[12:13], off
	s_waitcnt vmcnt(17)
	v_mul_f32_e32 v13, v16, v5
	v_mul_f32_e32 v12, v17, v5
	v_fma_f32 v13, v17, v4, -v13
	v_fmac_f32_e32 v12, v16, v4
	s_waitcnt vmcnt(16)
	v_mul_f32_e32 v4, v18, v7
	v_fma_f32 v5, v19, v6, -v4
	v_mul_f32_e32 v4, v19, v7
	v_fmac_f32_e32 v4, v18, v6
	ds_write2_b64 v57, v[12:13], v[4:5] offset1:35
	s_waitcnt vmcnt(15)
	v_mul_f32_e32 v4, v20, v9
	v_fma_f32 v5, v21, v8, -v4
	v_mul_f32_e32 v4, v21, v9
	s_waitcnt vmcnt(14)
	v_mul_f32_e32 v6, v23, v11
	v_mul_f32_e32 v7, v22, v11
	v_fmac_f32_e32 v4, v20, v8
	v_fmac_f32_e32 v6, v22, v10
	v_fma_f32 v7, v23, v10, -v7
	ds_write2_b64 v57, v[4:5], v[6:7] offset0:70 offset1:105
	s_waitcnt vmcnt(8)
	v_mul_f32_e32 v4, v1, v25
	v_fmac_f32_e32 v4, v0, v24
	v_mul_f32_e32 v0, v0, v25
	v_fma_f32 v5, v1, v24, -v0
	s_waitcnt vmcnt(7)
	v_mul_f32_e32 v0, v3, v27
	v_mul_f32_e32 v1, v2, v27
	v_fmac_f32_e32 v0, v2, v26
	v_fma_f32 v1, v3, v26, -v1
	ds_write2_b64 v57, v[4:5], v[0:1] offset0:140 offset1:175
	s_waitcnt vmcnt(6)
	v_mul_f32_e32 v0, v35, v29
	v_mul_f32_e32 v1, v34, v29
	s_waitcnt vmcnt(5)
	v_mul_f32_e32 v2, v37, v31
	v_mul_f32_e32 v3, v36, v31
	v_fmac_f32_e32 v0, v34, v28
	v_fma_f32 v1, v35, v28, -v1
	v_fmac_f32_e32 v2, v36, v30
	v_fma_f32 v3, v37, v30, -v3
	ds_write2_b64 v57, v[0:1], v[2:3] offset0:210 offset1:245
	s_waitcnt vmcnt(4)
	v_mul_f32_e32 v0, v15, v33
	v_mul_f32_e32 v1, v14, v33
	s_waitcnt vmcnt(2)
	v_mul_f32_e32 v2, v39, v41
	v_mul_f32_e32 v3, v38, v41
	v_fmac_f32_e32 v0, v14, v32
	v_fma_f32 v1, v15, v32, -v1
	v_fmac_f32_e32 v2, v38, v40
	v_fma_f32 v3, v39, v40, -v3
	v_add_u32_e32 v4, 0x800, v57
	ds_write2_b64 v4, v[0:1], v[2:3] offset0:24 offset1:59
	s_waitcnt vmcnt(0)
	v_mul_f32_e32 v0, v45, v43
	v_mul_f32_e32 v1, v44, v43
	v_fmac_f32_e32 v0, v44, v42
	v_fma_f32 v1, v45, v42, -v1
	ds_write_b64 v57, v[0:1] offset:2800
.LBB0_3:
	s_or_b64 exec, exec, s[6:7]
	s_load_dwordx2 s[0:1], s[4:5], 0x20
	s_load_dwordx2 s[12:13], s[4:5], 0x8
	v_mov_b32_e32 v0, 0
	v_mov_b32_e32 v1, 0
	s_waitcnt lgkmcnt(0)
	; wave barrier
	s_waitcnt lgkmcnt(0)
                                        ; implicit-def: $vgpr4
                                        ; implicit-def: $vgpr16
                                        ; implicit-def: $vgpr20
                                        ; implicit-def: $vgpr14
                                        ; implicit-def: $vgpr10
	s_and_saveexec_b64 s[2:3], vcc
	s_cbranch_execz .LBB0_5
; %bb.4:
	ds_read2_b64 v[0:3], v57 offset1:35
	ds_read2_b64 v[8:11], v57 offset0:70 offset1:105
	ds_read2_b64 v[12:15], v57 offset0:140 offset1:175
	;; [unrolled: 1-line block ×3, first 2 shown]
	v_add_u32_e32 v16, 0x800, v57
	ds_read2_b64 v[16:19], v16 offset0:24 offset1:59
	ds_read_b64 v[20:21], v57 offset:2800
.LBB0_5:
	s_or_b64 exec, exec, s[2:3]
	s_waitcnt lgkmcnt(0)
	v_sub_f32_e32 v37, v3, v21
	v_mul_f32_e32 v25, 0xbf0a6770, v37
	v_add_f32_e32 v22, v20, v2
	v_sub_f32_e32 v40, v2, v20
	v_mov_b32_e32 v24, v25
	v_add_f32_e32 v23, v21, v3
	s_mov_b32 s4, 0x3f575c64
	v_mul_f32_e32 v27, 0xbf0a6770, v40
	v_fmac_f32_e32 v24, 0x3f575c64, v22
	v_sub_f32_e32 v51, v9, v19
	v_add_f32_e32 v28, v24, v0
	v_fma_f32 v24, v23, s4, -v27
	v_mul_f32_e32 v29, 0xbf68dda4, v51
	v_add_f32_e32 v30, v24, v1
	v_add_f32_e32 v24, v18, v8
	v_mov_b32_e32 v31, v29
	v_fmac_f32_e32 v31, 0x3ed4b147, v24
	v_sub_f32_e32 v54, v8, v18
	s_mov_b32 s5, 0x3ed4b147
	v_add_f32_e32 v26, v19, v9
	v_add_f32_e32 v32, v31, v28
	v_mul_f32_e32 v31, 0xbf68dda4, v54
	v_sub_f32_e32 v55, v11, v17
	v_fma_f32 v28, v26, s5, -v31
	v_mul_f32_e32 v33, 0xbf7d64f0, v55
	v_add_f32_e32 v34, v28, v30
	v_add_f32_e32 v28, v16, v10
	v_mov_b32_e32 v30, v33
	v_fmac_f32_e32 v30, 0xbe11bafb, v28
	v_sub_f32_e32 v62, v10, v16
	v_add_f32_e32 v36, v30, v32
	s_mov_b32 s6, 0xbe11bafb
	v_add_f32_e32 v30, v17, v11
	v_mul_f32_e32 v35, 0xbf7d64f0, v62
	v_sub_f32_e32 v67, v13, v7
	v_fma_f32 v32, v30, s6, -v35
	v_mul_f32_e32 v38, 0xbf4178ce, v67
	v_add_f32_e32 v39, v32, v34
	v_add_f32_e32 v32, v6, v12
	v_mov_b32_e32 v34, v38
	v_fmac_f32_e32 v34, 0xbf27a4f4, v32
	v_sub_f32_e32 v71, v12, v6
	v_add_f32_e32 v41, v34, v36
	s_mov_b32 s7, 0xbf27a4f4
	v_add_f32_e32 v34, v7, v13
	v_mul_f32_e32 v47, 0xbf4178ce, v71
	v_sub_f32_e32 v72, v15, v5
	v_fma_f32 v36, v34, s7, -v47
	v_mul_f32_e32 v52, 0xbe903f40, v72
	v_add_f32_e32 v42, v36, v39
	v_add_f32_e32 v36, v4, v14
	v_mov_b32_e32 v39, v52
	v_fmac_f32_e32 v39, 0xbf75a155, v36
	v_sub_f32_e32 v80, v14, v4
	s_mov_b32 s14, 0xbf75a155
	v_add_f32_e32 v49, v39, v41
	v_add_f32_e32 v39, v5, v15
	v_mul_f32_e32 v53, 0xbe903f40, v80
	v_fma_f32 v41, v39, s14, -v53
	v_mul_f32_e32 v56, 0xbf68dda4, v37
	v_add_f32_e32 v50, v41, v42
	v_mov_b32_e32 v41, v56
	v_mul_f32_e32 v60, 0xbf4178ce, v51
	v_fmac_f32_e32 v41, 0x3ed4b147, v22
	v_mov_b32_e32 v42, v60
	v_add_f32_e32 v41, v41, v0
	v_fmac_f32_e32 v42, 0xbf27a4f4, v24
	v_mul_f32_e32 v64, 0xbf68dda4, v40
	v_add_f32_e32 v41, v42, v41
	v_fma_f32 v42, v23, s5, -v64
	v_mul_f32_e32 v65, 0xbf4178ce, v54
	v_add_f32_e32 v42, v42, v1
	v_fma_f32 v43, v26, s7, -v65
	v_mul_f32_e32 v61, 0x3e903f40, v55
	v_add_f32_e32 v42, v43, v42
	v_mov_b32_e32 v43, v61
	v_fmac_f32_e32 v43, 0xbf75a155, v28
	v_mul_f32_e32 v68, 0x3e903f40, v62
	v_add_f32_e32 v41, v43, v41
	v_fma_f32 v43, v30, s14, -v68
	v_mul_f32_e32 v63, 0x3f7d64f0, v67
	v_add_f32_e32 v42, v43, v42
	v_mov_b32_e32 v43, v63
	v_fmac_f32_e32 v43, 0xbe11bafb, v32
	v_mul_f32_e32 v69, 0x3f7d64f0, v71
	v_add_f32_e32 v41, v43, v41
	v_fma_f32 v43, v34, s6, -v69
	v_mul_f32_e32 v66, 0x3f0a6770, v72
	v_add_f32_e32 v42, v43, v42
	v_mov_b32_e32 v43, v66
	v_fmac_f32_e32 v43, 0x3f575c64, v36
	v_mul_f32_e32 v70, 0x3f0a6770, v80
	v_add_f32_e32 v41, v43, v41
	v_fma_f32 v43, v39, s4, -v70
	v_mul_f32_e32 v73, 0xbf7d64f0, v37
	v_add_f32_e32 v42, v43, v42
	v_mov_b32_e32 v43, v73
	v_mul_f32_e32 v74, 0x3e903f40, v51
	v_fmac_f32_e32 v43, 0xbe11bafb, v22
	v_mov_b32_e32 v44, v74
	v_add_f32_e32 v43, v43, v0
	v_fmac_f32_e32 v44, 0xbf75a155, v24
	v_mul_f32_e32 v77, 0xbf7d64f0, v40
	v_add_f32_e32 v43, v44, v43
	v_fma_f32 v44, v23, s6, -v77
	v_mul_f32_e32 v78, 0x3e903f40, v54
	v_add_f32_e32 v44, v44, v1
	v_fma_f32 v45, v26, s14, -v78
	v_mul_f32_e32 v75, 0x3f68dda4, v55
	v_add_f32_e32 v44, v45, v44
	v_mov_b32_e32 v45, v75
	v_fmac_f32_e32 v45, 0x3ed4b147, v28
	v_mul_f32_e32 v81, 0x3f68dda4, v62
	v_add_f32_e32 v43, v45, v43
	v_fma_f32 v45, v30, s5, -v81
	v_mul_f32_e32 v76, 0xbf0a6770, v67
	v_add_f32_e32 v44, v45, v44
	v_mov_b32_e32 v45, v76
	v_fmac_f32_e32 v45, 0x3f575c64, v32
	v_mul_f32_e32 v82, 0xbf0a6770, v71
	v_add_f32_e32 v43, v45, v43
	v_fma_f32 v45, v34, s4, -v82
	v_mul_f32_e32 v79, 0xbf4178ce, v72
	v_add_f32_e32 v44, v45, v44
	v_mov_b32_e32 v45, v79
	v_fmac_f32_e32 v45, 0xbf27a4f4, v36
	v_mul_f32_e32 v83, 0xbf4178ce, v80
	v_add_f32_e32 v43, v45, v43
	;; [unrolled: 35-line block ×3, first 2 shown]
	v_fma_f32 v59, v39, s5, -v93
	v_add_f32_e32 v46, v59, v46
	v_mul_lo_u16_e32 v59, 11, v58
	s_waitcnt lgkmcnt(0)
	; wave barrier
	s_and_saveexec_b64 s[2:3], vcc
	s_cbranch_execz .LBB0_7
; %bb.6:
	v_mul_f32_e32 v40, 0xbe903f40, v40
	v_mov_b32_e32 v94, v40
	v_mul_f32_e32 v125, 0x3f0a6770, v54
	v_fmac_f32_e32 v94, 0xbf75a155, v23
	v_mov_b32_e32 v54, v125
	v_mul_f32_e32 v126, 0xbf4178ce, v62
	v_add_f32_e32 v94, v94, v1
	v_fmac_f32_e32 v54, 0x3f575c64, v26
	v_mov_b32_e32 v62, v126
	v_add_f32_e32 v54, v54, v94
	v_fmac_f32_e32 v62, 0xbf27a4f4, v30
	v_mul_f32_e32 v127, 0x3f68dda4, v71
	v_add_f32_e32 v54, v62, v54
	v_mov_b32_e32 v62, v127
	v_fmac_f32_e32 v62, 0x3ed4b147, v34
	v_mul_f32_e32 v80, 0xbf7d64f0, v80
	v_add_f32_e32 v54, v62, v54
	v_mov_b32_e32 v62, v80
	v_fmac_f32_e32 v62, 0xbe11bafb, v39
	v_mul_f32_e32 v37, 0xbe903f40, v37
	v_add_f32_e32 v95, v62, v54
	v_fma_f32 v54, v22, s14, -v37
	v_mul_f32_e32 v51, 0x3f0a6770, v51
	v_add_f32_e32 v54, v54, v0
	v_fma_f32 v62, v24, s4, -v51
	;; [unrolled: 3-line block ×4, first 2 shown]
	v_mul_f32_e32 v129, 0xbf7d64f0, v72
	v_mul_f32_e32 v103, 0xbf27a4f4, v23
	v_add_f32_e32 v54, v55, v54
	v_fma_f32 v55, v36, s6, -v129
	v_mul_f32_e32 v111, 0xbe11bafb, v26
	v_add_f32_e32 v94, v55, v54
	v_add_f32_e32 v55, v89, v103
	v_mul_f32_e32 v119, 0x3f575c64, v30
	v_add_f32_e32 v72, v90, v111
	v_add_f32_e32 v55, v55, v1
	;; [unrolled: 3-line block ×3, first 2 shown]
	v_add_f32_e32 v55, v72, v55
	v_add_f32_e32 v71, v92, v71
	v_mul_f32_e32 v102, 0xbf27a4f4, v22
	v_add_f32_e32 v55, v71, v55
	v_mul_f32_e32 v71, 0x3ed4b147, v39
	v_mul_f32_e32 v110, 0xbe11bafb, v24
	v_add_f32_e32 v71, v93, v71
	v_sub_f32_e32 v84, v102, v84
	v_mul_f32_e32 v118, 0x3f575c64, v28
	v_add_f32_e32 v55, v71, v55
	v_add_f32_e32 v71, v84, v0
	v_sub_f32_e32 v84, v110, v85
	v_mul_f32_e32 v54, 0xbf75a155, v32
	v_add_f32_e32 v71, v84, v71
	v_sub_f32_e32 v84, v118, v86
	v_mul_f32_e32 v93, 0x3ed4b147, v36
	;; [unrolled: 3-line block ×4, first 2 shown]
	v_add_f32_e32 v54, v71, v54
	v_add_f32_e32 v71, v77, v101
	v_mul_f32_e32 v117, 0x3ed4b147, v30
	v_add_f32_e32 v71, v71, v1
	v_add_f32_e32 v77, v78, v109
	v_mul_f32_e32 v62, 0x3f575c64, v34
	;; [unrolled: 3-line block ×5, first 2 shown]
	v_mul_f32_e32 v108, 0xbf75a155, v24
	v_add_f32_e32 v72, v71, v62
	v_sub_f32_e32 v62, v100, v73
	v_add_f32_e32 v2, v2, v0
	v_mul_f32_e32 v105, 0x3ed4b147, v26
	v_mul_f32_e32 v116, 0x3ed4b147, v28
	v_add_f32_e32 v62, v62, v0
	v_sub_f32_e32 v71, v108, v74
	v_add_f32_e32 v27, v27, v97
	v_add_f32_e32 v3, v3, v1
	;; [unrolled: 1-line block ×3, first 2 shown]
	v_mul_f32_e32 v113, 0xbe11bafb, v30
	v_mul_f32_e32 v124, 0x3f575c64, v32
	v_add_f32_e32 v62, v71, v62
	v_sub_f32_e32 v71, v116, v75
	v_add_f32_e32 v27, v27, v1
	v_add_f32_e32 v31, v31, v105
	;; [unrolled: 1-line block ×4, first 2 shown]
	v_mul_f32_e32 v121, 0xbf27a4f4, v34
	v_mul_f32_e32 v92, 0xbf27a4f4, v36
	v_add_f32_e32 v62, v71, v62
	v_sub_f32_e32 v71, v124, v76
	v_add_f32_e32 v27, v31, v27
	v_add_f32_e32 v31, v35, v113
	;; [unrolled: 1-line block ×4, first 2 shown]
	v_mul_f32_e32 v96, 0x3f575c64, v22
	v_mul_f32_e32 v99, 0x3ed4b147, v23
	;; [unrolled: 1-line block ×3, first 2 shown]
	v_add_f32_e32 v62, v71, v62
	v_sub_f32_e32 v71, v92, v79
	v_add_f32_e32 v27, v31, v27
	v_add_f32_e32 v31, v47, v121
	;; [unrolled: 1-line block ×4, first 2 shown]
	v_mul_f32_e32 v98, 0x3ed4b147, v22
	v_mul_f32_e32 v104, 0x3ed4b147, v24
	v_add_f32_e32 v71, v71, v62
	v_add_f32_e32 v62, v64, v99
	;; [unrolled: 1-line block ×4, first 2 shown]
	v_sub_f32_e32 v25, v96, v25
	v_add_f32_e32 v3, v15, v3
	v_add_f32_e32 v2, v4, v2
	v_fma_f32 v4, v23, s14, -v40
	v_mul_f32_e32 v106, 0xbf27a4f4, v24
	v_mul_f32_e32 v107, 0xbf27a4f4, v26
	;; [unrolled: 1-line block ×3, first 2 shown]
	v_add_f32_e32 v62, v62, v1
	v_sub_f32_e32 v56, v98, v56
	v_add_f32_e32 v53, v31, v27
	v_add_f32_e32 v25, v25, v0
	v_sub_f32_e32 v27, v104, v29
	v_add_f32_e32 v3, v5, v3
	v_add_f32_e32 v1, v4, v1
	v_fma_f32 v4, v26, s4, -v125
	v_fmac_f32_e32 v37, 0xbf75a155, v22
	v_mul_f32_e32 v114, 0xbf75a155, v28
	v_mul_f32_e32 v115, 0xbf75a155, v30
	;; [unrolled: 1-line block ×3, first 2 shown]
	v_add_f32_e32 v64, v65, v107
	v_add_f32_e32 v56, v56, v0
	v_sub_f32_e32 v60, v106, v60
	v_add_f32_e32 v25, v27, v25
	v_sub_f32_e32 v27, v112, v33
	v_add_f32_e32 v3, v7, v3
	v_add_f32_e32 v2, v6, v2
	;; [unrolled: 1-line block ×3, first 2 shown]
	v_fma_f32 v4, v30, s7, -v126
	v_add_f32_e32 v0, v37, v0
	v_fmac_f32_e32 v51, 0x3f575c64, v24
	v_mul_f32_e32 v122, 0xbe11bafb, v32
	v_mul_f32_e32 v123, 0xbe11bafb, v34
	;; [unrolled: 1-line block ×3, first 2 shown]
	v_add_f32_e32 v62, v64, v62
	v_add_f32_e32 v64, v68, v115
	;; [unrolled: 1-line block ×3, first 2 shown]
	v_sub_f32_e32 v60, v114, v61
	v_add_f32_e32 v25, v27, v25
	v_sub_f32_e32 v27, v120, v38
	v_add_f32_e32 v3, v17, v3
	v_add_f32_e32 v2, v16, v2
	;; [unrolled: 1-line block ×3, first 2 shown]
	v_fma_f32 v4, v34, s5, -v127
	v_add_f32_e32 v0, v51, v0
	v_fmac_f32_e32 v128, 0xbf27a4f4, v28
	v_mul_f32_e32 v91, 0x3f575c64, v36
	v_mul_f32_e32 v103, 0x3f575c64, v39
	v_add_f32_e32 v62, v64, v62
	v_add_f32_e32 v64, v69, v123
	;; [unrolled: 1-line block ×3, first 2 shown]
	v_sub_f32_e32 v60, v122, v63
	v_add_f32_e32 v25, v27, v25
	v_sub_f32_e32 v27, v89, v52
	v_add_f32_e32 v3, v19, v3
	v_add_f32_e32 v2, v18, v2
	;; [unrolled: 1-line block ×3, first 2 shown]
	v_fma_f32 v4, v39, s6, -v80
	v_add_f32_e32 v0, v128, v0
	v_fmac_f32_e32 v67, 0x3ed4b147, v32
	v_add_f32_e32 v62, v64, v62
	v_add_f32_e32 v64, v70, v103
	;; [unrolled: 1-line block ×3, first 2 shown]
	v_sub_f32_e32 v60, v91, v66
	v_add_f32_e32 v52, v27, v25
	v_add_f32_e32 v3, v21, v3
	;; [unrolled: 1-line block ×5, first 2 shown]
	v_fmac_f32_e32 v129, 0xbe11bafb, v36
	v_lshlrev_b32_e32 v4, 3, v59
	v_add_f32_e32 v62, v64, v62
	v_add_f32_e32 v61, v60, v56
	;; [unrolled: 1-line block ×3, first 2 shown]
	ds_write2_b64 v4, v[2:3], v[52:53] offset1:1
	ds_write2_b64 v4, v[61:62], v[71:72] offset0:2 offset1:3
	ds_write2_b64 v4, v[54:55], v[94:95] offset0:4 offset1:5
	;; [unrolled: 1-line block ×4, first 2 shown]
	ds_write_b64 v4, v[49:50] offset:80
.LBB0_7:
	s_or_b64 exec, exec, s[2:3]
	s_load_dwordx4 s[4:7], s[0:1], 0x0
	s_movk_i32 s0, 0x75
	v_mul_lo_u16_sdwa v0, v58, s0 dst_sel:DWORD dst_unused:UNUSED_PAD src0_sel:BYTE_0 src1_sel:DWORD
	v_sub_u16_sdwa v1, v58, v0 dst_sel:DWORD dst_unused:UNUSED_PAD src0_sel:DWORD src1_sel:BYTE_1
	v_lshrrev_b16_e32 v1, 1, v1
	v_and_b32_e32 v1, 0x7f, v1
	v_add_u16_sdwa v0, v1, v0 dst_sel:DWORD dst_unused:UNUSED_PAD src0_sel:DWORD src1_sel:BYTE_1
	v_lshrrev_b16_e32 v11, 3, v0
	v_mul_lo_u16_e32 v0, 11, v11
	v_sub_u16_e32 v0, v58, v0
	v_and_b32_e32 v32, 0xff, v0
	v_mul_u32_u24_e32 v0, 6, v32
	v_lshlrev_b32_e32 v8, 3, v0
	s_waitcnt lgkmcnt(0)
	; wave barrier
	s_waitcnt lgkmcnt(0)
	global_load_dwordx4 v[12:15], v8, s[12:13]
	global_load_dwordx4 v[4:7], v8, s[12:13] offset:16
	global_load_dwordx4 v[0:3], v8, s[12:13] offset:32
	v_add_u32_e32 v8, 0x400, v57
	ds_read2_b64 v[16:19], v57 offset1:55
	ds_read2_b64 v[20:23], v57 offset0:110 offset1:165
	ds_read_b64 v[9:10], v57 offset:2640
	ds_read2_b64 v[24:27], v8 offset0:92 offset1:147
	s_mov_b32 s1, 0x3f3bfb3b
	s_mov_b32 s2, 0xbf3bfb3b
	;; [unrolled: 1-line block ×3, first 2 shown]
	v_mul_u32_u24_e32 v11, 0x4d, v11
	v_add_lshl_u32 v60, v11, v32, 3
	s_waitcnt lgkmcnt(0)
	; wave barrier
	s_waitcnt vmcnt(2) lgkmcnt(0)
	v_mul_f32_e32 v28, v19, v13
	v_mul_f32_e32 v29, v18, v13
	;; [unrolled: 1-line block ×4, first 2 shown]
	s_waitcnt vmcnt(1)
	v_mul_f32_e32 v33, v23, v5
	s_waitcnt vmcnt(0)
	v_mul_f32_e32 v37, v27, v1
	v_mul_f32_e32 v38, v26, v1
	;; [unrolled: 1-line block ×7, first 2 shown]
	v_fma_f32 v18, v18, v12, -v28
	v_fmac_f32_e32 v29, v19, v12
	v_fma_f32 v19, v20, v14, -v30
	v_fmac_f32_e32 v31, v21, v14
	v_fma_f32 v20, v22, v4, -v33
	v_fma_f32 v22, v26, v0, -v37
	v_fmac_f32_e32 v38, v27, v0
	v_fma_f32 v9, v9, v2, -v39
	v_fmac_f32_e32 v40, v10, v2
	v_fmac_f32_e32 v34, v23, v4
	v_fma_f32 v21, v24, v6, -v35
	v_fmac_f32_e32 v36, v25, v6
	v_add_f32_e32 v10, v18, v9
	v_add_f32_e32 v23, v29, v40
	;; [unrolled: 1-line block ×4, first 2 shown]
	v_sub_f32_e32 v9, v18, v9
	v_sub_f32_e32 v18, v29, v40
	;; [unrolled: 1-line block ×3, first 2 shown]
	v_add_f32_e32 v26, v20, v21
	v_add_f32_e32 v27, v34, v36
	v_sub_f32_e32 v20, v21, v20
	v_add_f32_e32 v28, v24, v10
	v_add_f32_e32 v29, v25, v23
	v_sub_f32_e32 v22, v31, v38
	v_sub_f32_e32 v21, v36, v34
	;; [unrolled: 1-line block ×8, first 2 shown]
	v_add_f32_e32 v33, v20, v19
	v_add_f32_e32 v26, v26, v28
	;; [unrolled: 1-line block ×3, first 2 shown]
	v_sub_f32_e32 v35, v20, v19
	v_sub_f32_e32 v36, v21, v22
	;; [unrolled: 1-line block ×4, first 2 shown]
	v_add_f32_e32 v28, v33, v9
	v_mul_f32_e32 v29, 0x3f4a47b2, v10
	v_mul_f32_e32 v33, 0x3d64c772, v24
	v_add_f32_e32 v9, v16, v26
	v_add_f32_e32 v10, v17, v27
	;; [unrolled: 1-line block ×3, first 2 shown]
	v_sub_f32_e32 v21, v18, v21
	v_sub_f32_e32 v22, v22, v18
	v_mul_f32_e32 v23, 0x3f4a47b2, v23
	v_mul_f32_e32 v35, 0xbf08b237, v35
	;; [unrolled: 1-line block ×3, first 2 shown]
	v_fma_f32 v16, v30, s1, -v33
	v_fma_f32 v30, v30, s2, -v29
	v_fmac_f32_e32 v29, 0x3d64c772, v24
	v_mov_b32_e32 v24, v9
	v_mov_b32_e32 v33, v10
	v_add_f32_e32 v18, v34, v18
	v_mul_f32_e32 v34, 0x3d64c772, v25
	v_mul_f32_e32 v37, 0x3f5ff5aa, v19
	;; [unrolled: 1-line block ×3, first 2 shown]
	v_fmac_f32_e32 v24, 0xbf955555, v26
	v_fmac_f32_e32 v33, 0xbf955555, v27
	v_fma_f32 v26, v31, s2, -v23
	v_fmac_f32_e32 v23, 0x3d64c772, v25
	v_fma_f32 v25, v19, s0, -v35
	v_fmac_f32_e32 v35, 0x3eae86e6, v20
	v_fma_f32 v22, v22, s0, -v36
	v_fmac_f32_e32 v36, 0x3eae86e6, v21
	s_mov_b32 s0, 0xbeae86e6
	v_fma_f32 v17, v31, s1, -v34
	v_fma_f32 v27, v20, s0, -v37
	;; [unrolled: 1-line block ×3, first 2 shown]
	v_add_f32_e32 v34, v29, v24
	v_add_f32_e32 v37, v23, v33
	v_fmac_f32_e32 v35, 0x3ee1c552, v28
	v_fmac_f32_e32 v36, 0x3ee1c552, v18
	v_add_f32_e32 v23, v16, v24
	v_add_f32_e32 v29, v17, v33
	;; [unrolled: 1-line block ×4, first 2 shown]
	v_fmac_f32_e32 v25, 0x3ee1c552, v28
	v_fmac_f32_e32 v22, 0x3ee1c552, v18
	;; [unrolled: 1-line block ×4, first 2 shown]
	v_add_f32_e32 v16, v36, v34
	v_sub_f32_e32 v17, v37, v35
	v_add_f32_e32 v18, v31, v24
	v_sub_f32_e32 v19, v26, v27
	v_sub_f32_e32 v20, v23, v22
	v_add_f32_e32 v21, v25, v29
	v_add_f32_e32 v22, v22, v23
	v_sub_f32_e32 v23, v29, v25
	v_sub_f32_e32 v28, v24, v31
	v_add_f32_e32 v29, v27, v26
	v_sub_f32_e32 v30, v34, v36
	v_add_f32_e32 v31, v35, v37
	ds_write2_b64 v60, v[9:10], v[16:17] offset1:11
	ds_write2_b64 v60, v[18:19], v[20:21] offset0:22 offset1:33
	ds_write2_b64 v60, v[22:23], v[28:29] offset0:44 offset1:55
	ds_write_b64 v60, v[30:31] offset:528
	s_waitcnt lgkmcnt(0)
	; wave barrier
	s_waitcnt lgkmcnt(0)
	ds_read2_b64 v[36:39], v57 offset1:77
	ds_read2_b64 v[32:35], v57 offset0:154 offset1:231
	ds_read_b64 v[51:52], v57 offset:2464
	v_cmp_gt_u16_e64 s[0:1], 22, v58
	s_and_saveexec_b64 s[2:3], s[0:1]
	s_cbranch_execz .LBB0_9
; %bb.8:
	ds_read2_b64 v[8:11], v8 offset0:81 offset1:158
	ds_read2_b64 v[28:31], v57 offset0:55 offset1:132
	ds_read_b64 v[41:42], v57 offset:2904
	s_waitcnt lgkmcnt(2)
	v_mov_b32_e32 v45, v8
	v_mov_b32_e32 v46, v9
	;; [unrolled: 1-line block ×4, first 2 shown]
.LBB0_9:
	s_or_b64 exec, exec, s[2:3]
	v_lshlrev_b32_e32 v8, 5, v58
	global_load_dwordx4 v[24:27], v8, s[12:13] offset:528
	global_load_dwordx4 v[20:23], v8, s[12:13] offset:544
	v_add_co_u32_e64 v8, s[2:3], 55, v58
	v_addc_co_u32_e64 v9, s[2:3], 0, 0, s[2:3]
	s_movk_i32 s2, 0xffea
	v_add_co_u32_e64 v11, s[2:3], s2, v58
	v_addc_co_u32_e64 v16, s[2:3], 0, -1, s[2:3]
	v_cndmask_b32_e64 v9, v16, v9, s[0:1]
	v_cndmask_b32_e64 v8, v11, v8, s[0:1]
	v_lshlrev_b64 v[8:9], 5, v[8:9]
	v_mov_b32_e32 v10, s13
	v_add_co_u32_e64 v53, s[2:3], s12, v8
	v_addc_co_u32_e64 v54, s[2:3], v10, v9, s[2:3]
	global_load_dwordx4 v[16:19], v[53:54], off offset:528
	global_load_dwordx4 v[8:11], v[53:54], off offset:544
	s_waitcnt vmcnt(3) lgkmcnt(2)
	v_mul_f32_e32 v40, v39, v25
	v_mul_f32_e32 v47, v38, v25
	s_waitcnt lgkmcnt(1)
	v_mul_f32_e32 v53, v33, v27
	s_waitcnt vmcnt(2)
	v_mul_f32_e32 v55, v35, v21
	v_mul_f32_e32 v54, v32, v27
	;; [unrolled: 1-line block ×3, first 2 shown]
	s_waitcnt lgkmcnt(0)
	v_mul_f32_e32 v61, v52, v23
	v_fma_f32 v63, v38, v24, -v40
	v_fmac_f32_e32 v47, v39, v24
	v_fma_f32 v39, v32, v26, -v53
	v_fma_f32 v53, v34, v20, -v55
	v_fmac_f32_e32 v54, v33, v26
	v_fmac_f32_e32 v56, v35, v20
	v_fma_f32 v35, v51, v22, -v61
	v_add_f32_e32 v32, v36, v63
	v_add_f32_e32 v33, v39, v53
	;; [unrolled: 1-line block ×3, first 2 shown]
	v_sub_f32_e32 v34, v63, v39
	v_sub_f32_e32 v38, v35, v53
	v_add_f32_e32 v55, v63, v35
	v_sub_f32_e32 v61, v39, v63
	v_sub_f32_e32 v64, v53, v35
	v_add_f32_e32 v66, v54, v56
	v_add_f32_e32 v32, v32, v39
	v_fma_f32 v40, -0.5, v33, v36
	v_add_f32_e32 v33, v65, v54
	s_waitcnt vmcnt(1)
	v_mul_f32_e32 v65, v46, v19
	s_waitcnt vmcnt(0)
	v_mul_f32_e32 v71, v42, v11
	v_mul_f32_e32 v62, v51, v23
	v_add_f32_e32 v67, v34, v38
	v_fma_f32 v38, -0.5, v55, v36
	v_add_f32_e32 v55, v61, v64
	v_add_f32_e32 v32, v32, v53
	v_mul_f32_e32 v61, v31, v17
	v_mul_f32_e32 v68, v45, v19
	;; [unrolled: 1-line block ×3, first 2 shown]
	v_fma_f32 v65, v45, v18, -v65
	v_fma_f32 v45, v41, v10, -v71
	v_fma_f32 v41, -0.5, v66, v37
	v_fmac_f32_e32 v62, v52, v22
	v_mul_f32_e32 v64, v30, v17
	v_add_f32_e32 v32, v32, v35
	v_fma_f32 v61, v30, v16, -v61
	v_sub_f32_e32 v30, v63, v35
	v_mov_b32_e32 v35, v41
	v_fmac_f32_e32 v64, v31, v16
	v_fmac_f32_e32 v72, v42, v10
	;; [unrolled: 1-line block ×3, first 2 shown]
	v_sub_f32_e32 v31, v39, v53
	v_sub_f32_e32 v39, v47, v54
	;; [unrolled: 1-line block ×3, first 2 shown]
	v_fmac_f32_e32 v41, 0x3f737871, v30
	v_fmac_f32_e32 v35, 0xbf167918, v31
	v_add_f32_e32 v39, v39, v42
	v_fmac_f32_e32 v41, 0x3f167918, v31
	v_fmac_f32_e32 v35, 0x3e9e377a, v39
	;; [unrolled: 1-line block ×3, first 2 shown]
	v_add_f32_e32 v39, v47, v62
	v_fma_f32 v39, -0.5, v39, v37
	v_mov_b32_e32 v37, v39
	v_fmac_f32_e32 v37, 0x3f737871, v31
	v_fmac_f32_e32 v39, 0xbf737871, v31
	v_mul_f32_e32 v69, v44, v9
	v_fmac_f32_e32 v37, 0xbf167918, v30
	v_fmac_f32_e32 v39, 0x3f167918, v30
	v_add_f32_e32 v30, v28, v61
	v_mul_f32_e32 v70, v43, v9
	v_fma_f32 v69, v43, v8, -v69
	v_sub_f32_e32 v42, v54, v47
	v_sub_f32_e32 v43, v56, v62
	v_add_f32_e32 v30, v30, v65
	v_add_f32_e32 v42, v42, v43
	;; [unrolled: 1-line block ×3, first 2 shown]
	v_fmac_f32_e32 v37, 0x3e9e377a, v42
	v_fmac_f32_e32 v39, 0x3e9e377a, v42
	v_add_f32_e32 v42, v30, v45
	v_add_f32_e32 v30, v65, v69
	v_fma_f32 v30, -0.5, v30, v28
	v_fmac_f32_e32 v68, v46, v18
	v_fmac_f32_e32 v70, v44, v8
	v_sub_f32_e32 v31, v64, v72
	v_mov_b32_e32 v44, v30
	v_sub_f32_e32 v51, v47, v62
	v_fmac_f32_e32 v44, 0x3f737871, v31
	v_sub_f32_e32 v43, v68, v70
	v_sub_f32_e32 v46, v61, v65
	;; [unrolled: 1-line block ×3, first 2 shown]
	v_fmac_f32_e32 v30, 0xbf737871, v31
	v_fmac_f32_e32 v44, 0x3f167918, v43
	v_add_f32_e32 v46, v46, v47
	v_fmac_f32_e32 v30, 0xbf167918, v43
	v_fmac_f32_e32 v44, 0x3e9e377a, v46
	;; [unrolled: 1-line block ×3, first 2 shown]
	v_add_f32_e32 v46, v61, v45
	v_fmac_f32_e32 v28, -0.5, v46
	v_mov_b32_e32 v46, v28
	v_fmac_f32_e32 v46, 0xbf737871, v43
	v_fmac_f32_e32 v28, 0x3f737871, v43
	;; [unrolled: 1-line block ×4, first 2 shown]
	v_add_f32_e32 v31, v29, v64
	v_add_f32_e32 v31, v31, v68
	v_sub_f32_e32 v52, v54, v56
	v_mov_b32_e32 v36, v38
	v_add_f32_e32 v31, v31, v70
	v_mov_b32_e32 v34, v40
	v_fmac_f32_e32 v38, 0x3f737871, v52
	v_fmac_f32_e32 v36, 0xbf737871, v52
	v_add_f32_e32 v43, v31, v72
	v_add_f32_e32 v31, v68, v70
	v_fmac_f32_e32 v40, 0xbf737871, v51
	v_fmac_f32_e32 v34, 0x3f737871, v51
	;; [unrolled: 1-line block ×4, first 2 shown]
	v_sub_f32_e32 v47, v65, v61
	v_sub_f32_e32 v51, v69, v45
	v_fma_f32 v31, -0.5, v31, v29
	v_add_f32_e32 v47, v47, v51
	v_sub_f32_e32 v51, v61, v45
	v_mov_b32_e32 v45, v31
	v_fmac_f32_e32 v40, 0xbf167918, v52
	v_fmac_f32_e32 v34, 0x3f167918, v52
	v_fmac_f32_e32 v46, 0x3e9e377a, v47
	v_fmac_f32_e32 v28, 0x3e9e377a, v47
	v_fmac_f32_e32 v45, 0xbf737871, v51
	v_sub_f32_e32 v52, v65, v69
	v_sub_f32_e32 v47, v64, v68
	;; [unrolled: 1-line block ×3, first 2 shown]
	v_fmac_f32_e32 v31, 0x3f737871, v51
	v_fmac_f32_e32 v45, 0xbf167918, v52
	v_add_f32_e32 v47, v47, v53
	v_fmac_f32_e32 v31, 0x3f167918, v52
	v_fmac_f32_e32 v45, 0x3e9e377a, v47
	v_fmac_f32_e32 v31, 0x3e9e377a, v47
	v_add_f32_e32 v47, v64, v72
	v_fmac_f32_e32 v29, -0.5, v47
	v_mov_b32_e32 v47, v29
	v_fmac_f32_e32 v47, 0x3f737871, v52
	v_sub_f32_e32 v53, v68, v64
	v_sub_f32_e32 v54, v70, v72
	v_fmac_f32_e32 v29, 0xbf737871, v52
	v_add_f32_e32 v33, v33, v56
	v_fmac_f32_e32 v47, 0xbf167918, v51
	v_add_f32_e32 v53, v53, v54
	;; [unrolled: 2-line block ×3, first 2 shown]
	v_fmac_f32_e32 v40, 0x3e9e377a, v67
	v_fmac_f32_e32 v38, 0x3e9e377a, v55
	;; [unrolled: 1-line block ×6, first 2 shown]
	ds_write2_b64 v57, v[32:33], v[34:35] offset1:77
	ds_write2_b64 v57, v[36:37], v[38:39] offset0:154 offset1:231
	ds_write_b64 v57, v[40:41] offset:2464
	s_and_saveexec_b64 s[2:3], s[0:1]
	s_cbranch_execz .LBB0_11
; %bb.10:
	v_add_u32_e32 v51, 0x400, v57
	ds_write2_b64 v57, v[42:43], v[44:45] offset0:55 offset1:132
	ds_write2_b64 v51, v[46:47], v[28:29] offset0:81 offset1:158
	ds_write_b64 v57, v[30:31] offset:2904
.LBB0_11:
	s_or_b64 exec, exec, s[2:3]
	s_waitcnt lgkmcnt(0)
	; wave barrier
	s_waitcnt lgkmcnt(0)
	s_and_saveexec_b64 s[2:3], vcc
	s_cbranch_execz .LBB0_13
; %bb.12:
	global_load_dwordx2 v[51:52], v57, s[8:9] offset:3080
	s_add_u32 s12, s8, 0xc08
	s_addc_u32 s13, s9, 0
	global_load_dwordx2 v[55:56], v57, s[12:13] offset:280
	global_load_dwordx2 v[77:78], v57, s[12:13] offset:560
	;; [unrolled: 1-line block ×10, first 2 shown]
	ds_read_b64 v[53:54], v57
	v_add_u32_e32 v96, 0x400, v57
	v_add_u32_e32 v97, 0x800, v57
	s_waitcnt vmcnt(10) lgkmcnt(0)
	v_mul_f32_e32 v61, v54, v52
	v_mul_f32_e32 v62, v53, v52
	v_fma_f32 v61, v53, v51, -v61
	v_fmac_f32_e32 v62, v54, v51
	ds_write_b64 v57, v[61:62]
	ds_read2_b64 v[51:54], v57 offset0:35 offset1:70
	ds_read2_b64 v[61:64], v57 offset0:105 offset1:140
	;; [unrolled: 1-line block ×5, first 2 shown]
	s_waitcnt vmcnt(9) lgkmcnt(4)
	v_mul_f32_e32 v98, v52, v56
	v_mul_f32_e32 v95, v51, v56
	s_waitcnt vmcnt(8)
	v_mul_f32_e32 v99, v54, v78
	v_mul_f32_e32 v56, v53, v78
	s_waitcnt vmcnt(7) lgkmcnt(3)
	v_mul_f32_e32 v100, v62, v80
	v_mul_f32_e32 v78, v61, v80
	s_waitcnt vmcnt(6)
	v_mul_f32_e32 v101, v64, v82
	v_mul_f32_e32 v80, v63, v82
	;; [unrolled: 6-line block ×5, first 2 shown]
	v_fma_f32 v94, v51, v55, -v98
	v_fmac_f32_e32 v95, v52, v55
	v_fma_f32 v55, v53, v77, -v99
	v_fmac_f32_e32 v56, v54, v77
	;; [unrolled: 2-line block ×10, first 2 shown]
	ds_write2_b64 v57, v[94:95], v[55:56] offset0:35 offset1:70
	ds_write2_b64 v57, v[77:78], v[79:80] offset0:105 offset1:140
	;; [unrolled: 1-line block ×5, first 2 shown]
.LBB0_13:
	s_or_b64 exec, exec, s[2:3]
	s_waitcnt lgkmcnt(0)
	; wave barrier
	s_waitcnt lgkmcnt(0)
	s_and_saveexec_b64 s[2:3], vcc
	s_cbranch_execz .LBB0_15
; %bb.14:
	ds_read2_b64 v[32:35], v57 offset1:35
	ds_read2_b64 v[36:39], v57 offset0:70 offset1:105
	ds_read2_b64 v[40:43], v57 offset0:140 offset1:175
	;; [unrolled: 1-line block ×3, first 2 shown]
	v_add_u32_e32 v28, 0x800, v57
	ds_read2_b64 v[28:31], v28 offset0:24 offset1:59
	ds_read_b64 v[49:50], v57 offset:2800
.LBB0_15:
	s_or_b64 exec, exec, s[2:3]
	s_waitcnt lgkmcnt(0)
	v_sub_f32_e32 v68, v35, v50
	v_add_f32_e32 v61, v49, v34
	v_add_f32_e32 v71, v50, v35
	s_mov_b32 s12, 0x3ed4b147
	v_mul_f32_e32 v74, 0xbf68dda4, v68
	v_sub_f32_e32 v72, v37, v31
	v_mul_f32_e32 v76, 0x3ed4b147, v71
	v_fma_f32 v51, v61, s12, -v74
	s_mov_b32 s14, 0xbf27a4f4
	v_add_f32_e32 v63, v30, v36
	v_add_f32_e32 v75, v31, v37
	v_mul_f32_e32 v78, 0xbf4178ce, v72
	v_sub_f32_e32 v62, v34, v49
	v_add_f32_e32 v51, v32, v51
	v_mov_b32_e32 v52, v76
	v_mul_f32_e32 v81, 0xbf27a4f4, v75
	v_fma_f32 v65, v63, s14, -v78
	v_fmac_f32_e32 v52, 0xbf68dda4, v62
	s_mov_b32 s13, 0xbe11bafb
	v_mul_f32_e32 v79, 0xbf7d64f0, v68
	v_sub_f32_e32 v64, v36, v30
	v_add_f32_e32 v51, v65, v51
	v_mov_b32_e32 v65, v81
	v_add_f32_e32 v52, v33, v52
	v_mul_f32_e32 v83, 0xbe11bafb, v71
	v_fma_f32 v53, v61, s13, -v79
	v_fmac_f32_e32 v65, 0xbf4178ce, v64
	s_mov_b32 s15, 0xbf75a155
	v_mul_f32_e32 v85, 0x3e903f40, v72
	v_add_f32_e32 v53, v32, v53
	v_mov_b32_e32 v54, v83
	v_add_f32_e32 v52, v65, v52
	v_mul_f32_e32 v90, 0xbf75a155, v75
	v_fma_f32 v65, v63, s15, -v85
	v_fmac_f32_e32 v54, 0xbf7d64f0, v62
	v_mul_f32_e32 v87, 0xbf4178ce, v68
	v_add_f32_e32 v53, v65, v53
	v_mov_b32_e32 v65, v90
	v_add_f32_e32 v54, v33, v54
	v_mul_f32_e32 v91, 0xbf27a4f4, v71
	v_fma_f32 v55, v61, s14, -v87
	v_fmac_f32_e32 v65, 0x3e903f40, v64
	;; [unrolled: 7-line block ×3, first 2 shown]
	v_add_f32_e32 v55, v65, v55
	v_mov_b32_e32 v65, v98
	v_add_f32_e32 v56, v33, v56
	v_fmac_f32_e32 v65, 0x3f7d64f0, v64
	v_sub_f32_e32 v77, v39, v29
	v_add_f32_e32 v56, v65, v56
	v_add_f32_e32 v65, v28, v38
	;; [unrolled: 1-line block ×3, first 2 shown]
	v_mul_f32_e32 v84, 0x3e903f40, v77
	v_mul_f32_e32 v89, 0xbf75a155, v80
	v_fma_f32 v67, v65, s15, -v84
	v_sub_f32_e32 v66, v38, v28
	v_add_f32_e32 v51, v67, v51
	v_mov_b32_e32 v67, v89
	v_fmac_f32_e32 v67, 0x3e903f40, v66
	v_mul_f32_e32 v94, 0x3f68dda4, v77
	v_add_f32_e32 v52, v67, v52
	v_mul_f32_e32 v97, 0x3ed4b147, v80
	v_fma_f32 v67, v65, s12, -v94
	v_add_f32_e32 v53, v67, v53
	v_mov_b32_e32 v67, v97
	v_fmac_f32_e32 v67, 0x3f68dda4, v66
	s_mov_b32 s16, 0x3f575c64
	v_mul_f32_e32 v101, 0xbf0a6770, v77
	v_add_f32_e32 v54, v67, v54
	v_mul_f32_e32 v104, 0x3f575c64, v80
	v_fma_f32 v67, v65, s16, -v101
	v_add_f32_e32 v55, v67, v55
	v_mov_b32_e32 v67, v104
	v_fmac_f32_e32 v67, 0xbf0a6770, v66
	v_sub_f32_e32 v82, v41, v47
	v_add_f32_e32 v56, v67, v56
	v_add_f32_e32 v67, v46, v40
	;; [unrolled: 1-line block ×3, first 2 shown]
	v_mul_f32_e32 v92, 0x3f7d64f0, v82
	v_mul_f32_e32 v96, 0xbe11bafb, v86
	v_fma_f32 v70, v67, s13, -v92
	v_sub_f32_e32 v69, v40, v46
	v_add_f32_e32 v51, v70, v51
	v_mov_b32_e32 v70, v96
	v_fmac_f32_e32 v70, 0x3f7d64f0, v69
	v_mul_f32_e32 v100, 0xbf0a6770, v82
	v_add_f32_e32 v52, v70, v52
	v_mul_f32_e32 v103, 0x3f575c64, v86
	v_fma_f32 v70, v67, s16, -v100
	v_add_f32_e32 v53, v70, v53
	v_mov_b32_e32 v70, v103
	v_fmac_f32_e32 v70, 0xbf0a6770, v69
	v_mul_f32_e32 v106, 0xbe903f40, v82
	v_add_f32_e32 v54, v70, v54
	v_mul_f32_e32 v108, 0xbf75a155, v86
	v_fma_f32 v70, v67, s15, -v106
	v_add_f32_e32 v55, v70, v55
	v_mov_b32_e32 v70, v108
	v_fmac_f32_e32 v70, 0xbe903f40, v69
	v_sub_f32_e32 v88, v43, v45
	v_add_f32_e32 v56, v70, v56
	v_add_f32_e32 v70, v44, v42
	;; [unrolled: 1-line block ×3, first 2 shown]
	v_mul_f32_e32 v99, 0x3f0a6770, v88
	v_mul_f32_e32 v102, 0x3f575c64, v93
	v_fma_f32 v105, v70, s16, -v99
	v_sub_f32_e32 v73, v42, v44
	v_add_f32_e32 v51, v105, v51
	v_mov_b32_e32 v105, v102
	v_fmac_f32_e32 v105, 0x3f0a6770, v73
	v_add_f32_e32 v52, v105, v52
	v_mul_f32_e32 v105, 0xbf4178ce, v88
	v_mul_f32_e32 v107, 0xbf27a4f4, v93
	v_fma_f32 v109, v70, s14, -v105
	v_add_f32_e32 v53, v109, v53
	v_mov_b32_e32 v109, v107
	v_fmac_f32_e32 v109, 0xbf4178ce, v73
	v_add_f32_e32 v54, v109, v54
	v_mul_f32_e32 v109, 0x3f68dda4, v88
	v_mul_f32_e32 v110, 0x3ed4b147, v93
	v_fma_f32 v111, v70, s12, -v109
	v_add_f32_e32 v55, v111, v55
	v_mov_b32_e32 v111, v110
	v_fmac_f32_e32 v111, 0x3f68dda4, v73
	v_add_f32_e32 v56, v111, v56
	s_waitcnt lgkmcnt(0)
	; wave barrier
	s_and_saveexec_b64 s[2:3], vcc
	s_cbranch_execz .LBB0_17
; %bb.16:
	v_mul_f32_e32 v118, 0xbf4178ce, v62
	v_mul_f32_e32 v124, 0x3f7d64f0, v64
	v_sub_f32_e32 v91, v91, v118
	v_mul_f32_e32 v130, 0xbf0a6770, v66
	v_mul_f32_e32 v137, 0xbf75a155, v71
	v_sub_f32_e32 v98, v98, v124
	v_add_f32_e32 v91, v33, v91
	v_mul_f32_e32 v136, 0xbe903f40, v69
	v_mov_b32_e32 v111, v137
	v_mul_f32_e32 v138, 0x3f575c64, v75
	v_add_f32_e32 v91, v98, v91
	v_sub_f32_e32 v104, v104, v130
	v_mul_f32_e32 v117, 0xbf27a4f4, v61
	v_fmac_f32_e32 v111, 0x3e903f40, v62
	v_mov_b32_e32 v112, v138
	v_mul_f32_e32 v130, 0x3f68dda4, v73
	v_add_f32_e32 v91, v104, v91
	v_sub_f32_e32 v104, v108, v136
	v_mul_f32_e32 v123, 0xbe11bafb, v63
	v_add_f32_e32 v111, v33, v111
	v_fmac_f32_e32 v112, 0xbf0a6770, v64
	v_mul_f32_e32 v139, 0xbf27a4f4, v80
	v_add_f32_e32 v91, v104, v91
	v_sub_f32_e32 v104, v110, v130
	v_add_f32_e32 v87, v117, v87
	v_mul_f32_e32 v129, 0x3f575c64, v65
	v_add_f32_e32 v111, v112, v111
	v_mov_b32_e32 v112, v139
	v_add_f32_e32 v110, v104, v91
	v_add_f32_e32 v87, v32, v87
	;; [unrolled: 1-line block ×3, first 2 shown]
	v_mul_f32_e32 v135, 0xbf75a155, v67
	v_fmac_f32_e32 v112, 0x3f4178ce, v66
	v_mul_f32_e32 v140, 0x3ed4b147, v86
	v_add_f32_e32 v87, v91, v87
	v_add_f32_e32 v91, v129, v101
	v_mul_f32_e32 v116, 0xbf7d64f0, v62
	v_add_f32_e32 v111, v112, v111
	v_mov_b32_e32 v112, v140
	v_mul_f32_e32 v98, 0x3ed4b147, v70
	v_add_f32_e32 v87, v91, v87
	v_add_f32_e32 v91, v135, v106
	v_mul_f32_e32 v122, 0x3e903f40, v64
	v_fmac_f32_e32 v112, 0xbf68dda4, v69
	v_mul_f32_e32 v141, 0xbe11bafb, v93
	v_add_f32_e32 v87, v91, v87
	v_add_f32_e32 v91, v98, v109
	v_sub_f32_e32 v83, v83, v116
	v_mul_f32_e32 v128, 0x3f68dda4, v66
	v_add_f32_e32 v111, v112, v111
	v_mov_b32_e32 v112, v141
	v_add_f32_e32 v109, v91, v87
	v_add_f32_e32 v83, v33, v83
	v_sub_f32_e32 v87, v90, v122
	v_mul_f32_e32 v134, 0xbf0a6770, v69
	v_fmac_f32_e32 v112, 0x3f7d64f0, v73
	v_mul_f32_e32 v142, 0xbe903f40, v68
	v_add_f32_e32 v83, v87, v83
	v_sub_f32_e32 v87, v97, v128
	v_mul_f32_e32 v115, 0xbe11bafb, v61
	v_add_f32_e32 v112, v112, v111
	v_mov_b32_e32 v111, v142
	v_mul_f32_e32 v143, 0x3f0a6770, v72
	v_mul_f32_e32 v124, 0xbf4178ce, v73
	v_add_f32_e32 v83, v87, v83
	v_sub_f32_e32 v87, v103, v134
	v_mul_f32_e32 v121, 0xbf75a155, v63
	v_fmac_f32_e32 v111, 0xbf75a155, v61
	v_mov_b32_e32 v144, v143
	v_add_f32_e32 v83, v87, v83
	v_sub_f32_e32 v87, v107, v124
	v_add_f32_e32 v79, v115, v79
	v_mul_f32_e32 v127, 0x3ed4b147, v65
	v_add_f32_e32 v111, v32, v111
	v_fmac_f32_e32 v144, 0x3f575c64, v63
	v_add_f32_e32 v91, v87, v83
	v_add_f32_e32 v79, v32, v79
	;; [unrolled: 1-line block ×3, first 2 shown]
	v_mul_f32_e32 v133, 0x3f575c64, v67
	v_add_f32_e32 v111, v144, v111
	v_mul_f32_e32 v144, 0xbf4178ce, v77
	v_add_f32_e32 v79, v83, v79
	v_add_f32_e32 v83, v127, v94
	;; [unrolled: 1-line block ×3, first 2 shown]
	v_mul_f32_e32 v114, 0xbf68dda4, v62
	v_mov_b32_e32 v145, v144
	v_mul_f32_e32 v118, 0xbf27a4f4, v70
	v_add_f32_e32 v79, v83, v79
	v_add_f32_e32 v83, v133, v100
	;; [unrolled: 1-line block ×3, first 2 shown]
	v_mul_f32_e32 v120, 0xbf4178ce, v64
	v_fmac_f32_e32 v145, 0xbf27a4f4, v65
	v_add_f32_e32 v79, v83, v79
	v_add_f32_e32 v83, v118, v105
	v_sub_f32_e32 v76, v76, v114
	v_add_f32_e32 v35, v39, v35
	v_mul_f32_e32 v126, 0x3e903f40, v66
	v_add_f32_e32 v111, v145, v111
	v_mul_f32_e32 v145, 0x3f68dda4, v82
	v_add_f32_e32 v90, v83, v79
	v_add_f32_e32 v76, v33, v76
	v_sub_f32_e32 v79, v81, v120
	v_add_f32_e32 v35, v41, v35
	v_mul_f32_e32 v132, 0x3f7d64f0, v69
	v_mov_b32_e32 v146, v145
	v_add_f32_e32 v76, v79, v76
	v_sub_f32_e32 v79, v89, v126
	v_add_f32_e32 v35, v43, v35
	v_mul_f32_e32 v113, 0x3ed4b147, v61
	v_fmac_f32_e32 v146, 0x3ed4b147, v67
	v_mul_f32_e32 v148, 0x3f0a6770, v73
	v_add_f32_e32 v76, v79, v76
	v_sub_f32_e32 v79, v96, v132
	v_add_f32_e32 v35, v45, v35
	v_mul_f32_e32 v119, 0xbf27a4f4, v63
	v_add_f32_e32 v111, v146, v111
	v_mul_f32_e32 v146, 0xbf7d64f0, v88
	v_add_f32_e32 v76, v79, v76
	v_sub_f32_e32 v79, v102, v148
	v_add_f32_e32 v74, v113, v74
	v_add_f32_e32 v35, v47, v35
	v_mul_f32_e32 v125, 0xbf75a155, v65
	v_mov_b32_e32 v147, v146
	v_add_f32_e32 v79, v79, v76
	v_add_f32_e32 v74, v32, v74
	;; [unrolled: 1-line block ×4, first 2 shown]
	v_mul_f32_e32 v131, 0xbe11bafb, v67
	v_fmac_f32_e32 v147, 0xbe11bafb, v70
	v_add_f32_e32 v74, v76, v74
	v_add_f32_e32 v76, v125, v84
	;; [unrolled: 1-line block ×5, first 2 shown]
	v_mul_f32_e32 v147, 0x3f575c64, v70
	v_add_f32_e32 v74, v76, v74
	v_add_f32_e32 v76, v131, v92
	;; [unrolled: 1-line block ×5, first 2 shown]
	v_mul_f32_e32 v71, 0x3f575c64, v71
	v_add_f32_e32 v31, v38, v31
	v_add_f32_e32 v78, v76, v74
	v_mov_b32_e32 v74, v71
	v_mul_f32_e32 v76, 0x3ed4b147, v75
	v_add_f32_e32 v31, v40, v31
	v_fmac_f32_e32 v74, 0x3f0a6770, v62
	v_mov_b32_e32 v75, v76
	v_add_f32_e32 v31, v42, v31
	v_add_f32_e32 v74, v33, v74
	v_fmac_f32_e32 v75, 0x3f68dda4, v64
	v_mul_f32_e32 v80, 0xbe11bafb, v80
	v_add_f32_e32 v31, v44, v31
	v_add_f32_e32 v74, v75, v74
	v_mov_b32_e32 v75, v80
	v_add_f32_e32 v31, v46, v31
	v_fmac_f32_e32 v75, 0x3f7d64f0, v66
	v_mul_f32_e32 v81, 0xbf27a4f4, v86
	v_add_f32_e32 v28, v28, v31
	v_fmac_f32_e32 v137, 0xbe903f40, v62
	v_add_f32_e32 v74, v75, v74
	v_mov_b32_e32 v75, v81
	v_add_f32_e32 v28, v30, v28
	v_add_f32_e32 v30, v33, v137
	v_fmac_f32_e32 v138, 0x3f0a6770, v64
	v_fmac_f32_e32 v75, 0x3f4178ce, v69
	v_mul_f32_e32 v83, 0xbf75a155, v93
	v_add_f32_e32 v30, v138, v30
	v_fmac_f32_e32 v139, 0xbf4178ce, v66
	v_add_f32_e32 v74, v75, v74
	v_mov_b32_e32 v75, v83
	v_add_f32_e32 v30, v139, v30
	v_fmac_f32_e32 v140, 0x3f68dda4, v69
	v_fmac_f32_e32 v75, 0x3e903f40, v73
	v_mul_f32_e32 v68, 0xbf0a6770, v68
	v_add_f32_e32 v30, v140, v30
	v_fmac_f32_e32 v141, 0xbf7d64f0, v73
	v_add_f32_e32 v75, v75, v74
	v_mov_b32_e32 v74, v68
	v_mul_f32_e32 v72, 0xbf68dda4, v72
	v_add_f32_e32 v31, v141, v30
	v_fma_f32 v30, v61, s15, -v142
	v_fmac_f32_e32 v74, 0x3f575c64, v61
	v_mov_b32_e32 v84, v72
	v_add_f32_e32 v30, v32, v30
	v_fma_f32 v34, v63, s16, -v143
	v_add_f32_e32 v74, v32, v74
	v_fmac_f32_e32 v84, 0x3ed4b147, v63
	v_mul_f32_e32 v77, 0xbf7d64f0, v77
	v_add_f32_e32 v30, v34, v30
	v_fma_f32 v34, v65, s14, -v144
	v_add_f32_e32 v74, v84, v74
	v_mov_b32_e32 v84, v77
	v_add_f32_e32 v30, v34, v30
	v_fma_f32 v34, v67, s12, -v145
	v_fmac_f32_e32 v84, 0xbe11bafb, v65
	v_mul_f32_e32 v82, 0xbf4178ce, v82
	v_add_f32_e32 v30, v34, v30
	v_fma_f32 v34, v70, s13, -v146
	v_add_f32_e32 v74, v84, v74
	v_mov_b32_e32 v84, v82
	v_add_f32_e32 v30, v34, v30
	v_fma_f32 v34, v61, s16, -v68
	v_fmac_f32_e32 v84, 0xbf27a4f4, v67
	v_fmac_f32_e32 v71, 0xbf0a6770, v62
	v_add_f32_e32 v32, v32, v34
	v_fma_f32 v34, v63, s12, -v72
	v_add_f32_e32 v74, v84, v74
	v_mul_f32_e32 v84, 0xbe903f40, v88
	v_add_f32_e32 v33, v33, v71
	v_fmac_f32_e32 v76, 0xbf68dda4, v64
	v_add_f32_e32 v32, v34, v32
	v_fma_f32 v34, v65, s13, -v77
	v_mov_b32_e32 v85, v84
	v_add_f32_e32 v33, v76, v33
	v_fmac_f32_e32 v80, 0xbf7d64f0, v66
	v_add_f32_e32 v32, v34, v32
	v_fma_f32 v34, v67, s14, -v82
	v_fmac_f32_e32 v85, 0xbf75a155, v70
	v_add_f32_e32 v33, v80, v33
	v_fmac_f32_e32 v81, 0xbf4178ce, v69
	v_add_f32_e32 v32, v34, v32
	v_fma_f32 v34, v70, s15, -v84
	v_add_f32_e32 v74, v85, v74
	v_add_f32_e32 v29, v50, v29
	;; [unrolled: 1-line block ×4, first 2 shown]
	v_fmac_f32_e32 v83, 0xbe903f40, v73
	v_add_f32_e32 v32, v34, v32
	v_lshlrev_b32_e32 v34, 3, v59
	v_add_f32_e32 v33, v83, v33
	ds_write2_b64 v34, v[28:29], v[74:75] offset1:1
	ds_write2_b64 v34, v[78:79], v[90:91] offset0:2 offset1:3
	ds_write2_b64 v34, v[109:110], v[111:112] offset0:4 offset1:5
	;; [unrolled: 1-line block ×4, first 2 shown]
	ds_write_b64 v34, v[32:33] offset:80
.LBB0_17:
	s_or_b64 exec, exec, s[2:3]
	s_waitcnt lgkmcnt(0)
	; wave barrier
	s_waitcnt lgkmcnt(0)
	ds_read2_b64 v[31:34], v57 offset1:55
	ds_read2_b64 v[35:38], v57 offset0:110 offset1:165
	v_add_u32_e32 v30, 0x400, v57
	ds_read2_b64 v[39:42], v30 offset0:92 offset1:147
	ds_read_b64 v[28:29], v57 offset:2640
	s_mov_b32 s3, 0x3f3bfb3b
	s_waitcnt lgkmcnt(3)
	v_mul_f32_e32 v43, v13, v34
	v_mul_f32_e32 v13, v13, v33
	v_fmac_f32_e32 v43, v12, v33
	v_fma_f32 v12, v12, v34, -v13
	s_waitcnt lgkmcnt(2)
	v_mul_f32_e32 v13, v15, v36
	v_mul_f32_e32 v15, v15, v35
	v_fmac_f32_e32 v13, v14, v35
	v_fma_f32 v14, v14, v36, -v15
	v_mul_f32_e32 v15, v5, v38
	v_mul_f32_e32 v5, v5, v37
	v_fmac_f32_e32 v15, v4, v37
	v_fma_f32 v4, v4, v38, -v5
	s_waitcnt lgkmcnt(1)
	v_mul_f32_e32 v5, v7, v40
	v_mul_f32_e32 v7, v7, v39
	v_fmac_f32_e32 v5, v6, v39
	v_fma_f32 v6, v6, v40, -v7
	;; [unrolled: 9-line block ×3, first 2 shown]
	v_add_f32_e32 v3, v43, v1
	v_add_f32_e32 v28, v12, v2
	v_sub_f32_e32 v2, v12, v2
	v_add_f32_e32 v12, v13, v7
	v_add_f32_e32 v29, v14, v0
	v_sub_f32_e32 v7, v13, v7
	v_sub_f32_e32 v0, v14, v0
	v_add_f32_e32 v13, v15, v5
	v_add_f32_e32 v14, v4, v6
	v_sub_f32_e32 v4, v6, v4
	v_add_f32_e32 v6, v12, v3
	v_sub_f32_e32 v5, v5, v15
	v_add_f32_e32 v15, v29, v28
	v_add_f32_e32 v6, v13, v6
	v_sub_f32_e32 v1, v43, v1
	v_sub_f32_e32 v33, v12, v3
	;; [unrolled: 1-line block ×4, first 2 shown]
	v_add_f32_e32 v36, v4, v0
	v_sub_f32_e32 v37, v5, v7
	v_sub_f32_e32 v38, v4, v0
	;; [unrolled: 1-line block ×3, first 2 shown]
	v_add_f32_e32 v13, v14, v15
	v_add_f32_e32 v4, v31, v6
	v_sub_f32_e32 v34, v29, v28
	v_sub_f32_e32 v28, v28, v14
	;; [unrolled: 1-line block ×3, first 2 shown]
	v_add_f32_e32 v35, v5, v7
	v_sub_f32_e32 v39, v1, v5
	v_add_f32_e32 v5, v32, v13
	v_mul_f32_e32 v31, 0x3f08b237, v37
	v_mov_b32_e32 v37, v4
	v_mul_f32_e32 v14, 0x3f4a47b2, v28
	v_mul_f32_e32 v15, 0x3d64c772, v12
	;; [unrolled: 1-line block ×3, first 2 shown]
	v_fmac_f32_e32 v37, 0xbf955555, v6
	v_mov_b32_e32 v6, v5
	v_sub_f32_e32 v7, v7, v1
	v_sub_f32_e32 v0, v0, v2
	v_mul_f32_e32 v3, 0x3f4a47b2, v3
	v_mul_f32_e32 v32, 0x3f08b237, v38
	s_mov_b32 s2, 0xbf5ff5aa
	v_fmac_f32_e32 v6, 0xbf955555, v13
	v_fma_f32 v13, v33, s3, -v15
	v_fma_f32 v15, v34, s3, -v28
	s_mov_b32 s3, 0xbf3bfb3b
	v_add_f32_e32 v1, v35, v1
	v_add_f32_e32 v2, v36, v2
	v_mul_f32_e32 v35, 0xbf5ff5aa, v7
	v_mul_f32_e32 v36, 0xbf5ff5aa, v0
	v_fma_f32 v28, v33, s3, -v3
	v_fmac_f32_e32 v3, 0x3d64c772, v12
	v_fma_f32 v12, v34, s3, -v14
	v_fmac_f32_e32 v14, 0x3d64c772, v29
	v_fma_f32 v29, v7, s2, -v31
	v_fma_f32 v0, v0, s2, -v32
	s_mov_b32 s2, 0x3eae86e6
	v_fmac_f32_e32 v31, 0xbeae86e6, v39
	v_fmac_f32_e32 v32, 0xbeae86e6, v40
	v_fma_f32 v33, v39, s2, -v35
	v_fma_f32 v34, v40, s2, -v36
	v_add_f32_e32 v3, v3, v37
	v_add_f32_e32 v35, v14, v6
	;; [unrolled: 1-line block ×6, first 2 shown]
	v_fmac_f32_e32 v31, 0xbee1c552, v1
	v_fmac_f32_e32 v32, 0xbee1c552, v2
	;; [unrolled: 1-line block ×6, first 2 shown]
	v_add_f32_e32 v6, v32, v3
	v_sub_f32_e32 v7, v35, v31
	v_add_f32_e32 v12, v34, v37
	v_sub_f32_e32 v13, v39, v33
	v_sub_f32_e32 v14, v36, v0
	v_add_f32_e32 v15, v29, v38
	v_add_f32_e32 v28, v0, v36
	v_sub_f32_e32 v29, v38, v29
	v_sub_f32_e32 v0, v37, v34
	v_add_f32_e32 v1, v33, v39
	v_sub_f32_e32 v2, v3, v32
	v_add_f32_e32 v3, v31, v35
	s_waitcnt lgkmcnt(0)
	; wave barrier
	ds_write2_b64 v60, v[4:5], v[6:7] offset1:11
	ds_write2_b64 v60, v[12:13], v[14:15] offset0:22 offset1:33
	ds_write2_b64 v60, v[28:29], v[0:1] offset0:44 offset1:55
	ds_write_b64 v60, v[2:3] offset:528
	s_waitcnt lgkmcnt(0)
	; wave barrier
	s_waitcnt lgkmcnt(0)
	ds_read2_b64 v[4:7], v57 offset1:77
	ds_read2_b64 v[12:15], v57 offset0:154 offset1:231
	ds_read_b64 v[28:29], v57 offset:2464
	s_and_saveexec_b64 s[2:3], s[0:1]
	s_cbranch_execz .LBB0_19
; %bb.18:
	ds_read2_b64 v[30:33], v30 offset0:81 offset1:158
	ds_read2_b64 v[0:3], v57 offset0:55 offset1:132
	ds_read_b64 v[51:52], v57 offset:2904
	s_waitcnt lgkmcnt(2)
	v_mov_b32_e32 v55, v30
	v_mov_b32_e32 v56, v31
	;; [unrolled: 1-line block ×4, first 2 shown]
.LBB0_19:
	s_or_b64 exec, exec, s[2:3]
	s_waitcnt lgkmcnt(2)
	v_mul_f32_e32 v30, v25, v7
	v_fmac_f32_e32 v30, v24, v6
	v_mul_f32_e32 v6, v25, v6
	v_fma_f32 v24, v24, v7, -v6
	s_waitcnt lgkmcnt(1)
	v_mul_f32_e32 v25, v27, v13
	v_mul_f32_e32 v6, v27, v12
	;; [unrolled: 1-line block ×3, first 2 shown]
	v_fmac_f32_e32 v25, v26, v12
	v_fma_f32 v26, v26, v13, -v6
	v_fmac_f32_e32 v27, v20, v14
	v_mul_f32_e32 v6, v21, v14
	v_fma_f32 v31, v20, v15, -v6
	s_waitcnt lgkmcnt(0)
	v_mul_f32_e32 v15, v23, v29
	v_mul_f32_e32 v6, v23, v28
	v_add_f32_e32 v7, v25, v27
	v_fmac_f32_e32 v15, v22, v28
	v_fma_f32 v22, v22, v29, -v6
	v_fma_f32 v12, -0.5, v7, v4
	v_sub_f32_e32 v7, v24, v22
	v_mov_b32_e32 v14, v12
	v_fmac_f32_e32 v14, 0xbf737871, v7
	v_sub_f32_e32 v13, v26, v31
	v_sub_f32_e32 v20, v30, v25
	;; [unrolled: 1-line block ×3, first 2 shown]
	v_fmac_f32_e32 v12, 0x3f737871, v7
	v_fmac_f32_e32 v14, 0xbf167918, v13
	v_add_f32_e32 v20, v20, v21
	v_fmac_f32_e32 v12, 0x3f167918, v13
	v_fmac_f32_e32 v14, 0x3e9e377a, v20
	;; [unrolled: 1-line block ×3, first 2 shown]
	v_add_f32_e32 v20, v30, v15
	v_add_f32_e32 v6, v4, v30
	v_fma_f32 v4, -0.5, v20, v4
	v_mov_b32_e32 v20, v4
	v_add_f32_e32 v6, v6, v25
	v_fmac_f32_e32 v20, 0x3f737871, v13
	v_fmac_f32_e32 v4, 0xbf737871, v13
	v_add_f32_e32 v13, v26, v31
	v_add_f32_e32 v6, v6, v27
	v_sub_f32_e32 v21, v25, v30
	v_sub_f32_e32 v23, v27, v15
	v_fma_f32 v13, -0.5, v13, v5
	v_add_f32_e32 v6, v6, v15
	v_fmac_f32_e32 v20, 0xbf167918, v7
	v_add_f32_e32 v21, v21, v23
	v_fmac_f32_e32 v4, 0x3f167918, v7
	v_sub_f32_e32 v23, v30, v15
	v_mov_b32_e32 v15, v13
	v_fmac_f32_e32 v20, 0x3e9e377a, v21
	v_fmac_f32_e32 v4, 0x3e9e377a, v21
	;; [unrolled: 1-line block ×3, first 2 shown]
	v_sub_f32_e32 v25, v25, v27
	v_sub_f32_e32 v21, v24, v26
	;; [unrolled: 1-line block ×3, first 2 shown]
	v_fmac_f32_e32 v13, 0xbf737871, v23
	v_fmac_f32_e32 v15, 0x3f167918, v25
	v_add_f32_e32 v21, v21, v27
	v_fmac_f32_e32 v13, 0xbf167918, v25
	v_add_f32_e32 v7, v5, v24
	v_fmac_f32_e32 v15, 0x3e9e377a, v21
	v_fmac_f32_e32 v13, 0x3e9e377a, v21
	v_add_f32_e32 v21, v24, v22
	v_add_f32_e32 v7, v7, v26
	v_fma_f32 v5, -0.5, v21, v5
	v_add_f32_e32 v7, v7, v31
	v_mov_b32_e32 v21, v5
	v_add_f32_e32 v7, v7, v22
	v_fmac_f32_e32 v21, 0xbf737871, v25
	v_sub_f32_e32 v24, v26, v24
	v_sub_f32_e32 v22, v31, v22
	v_fmac_f32_e32 v5, 0x3f737871, v25
	v_fmac_f32_e32 v21, 0x3f167918, v23
	v_add_f32_e32 v22, v24, v22
	v_fmac_f32_e32 v5, 0xbf167918, v23
	v_fmac_f32_e32 v21, 0x3e9e377a, v22
	v_fmac_f32_e32 v5, 0x3e9e377a, v22
	ds_write2_b64 v57, v[6:7], v[14:15] offset1:77
	ds_write2_b64 v57, v[20:21], v[4:5] offset0:154 offset1:231
	ds_write_b64 v57, v[12:13] offset:2464
	s_and_saveexec_b64 s[2:3], s[0:1]
	s_cbranch_execz .LBB0_21
; %bb.20:
	v_mul_f32_e32 v4, v11, v51
	v_fma_f32 v5, v10, v52, -v4
	v_mul_f32_e32 v4, v9, v53
	v_mul_f32_e32 v14, v17, v3
	v_fma_f32 v7, v8, v54, -v4
	v_mul_f32_e32 v4, v19, v55
	v_fmac_f32_e32 v14, v16, v2
	v_mul_f32_e32 v15, v19, v56
	v_fma_f32 v12, v18, v56, -v4
	v_mul_f32_e32 v4, v17, v2
	v_add_f32_e32 v2, v14, v0
	v_fmac_f32_e32 v15, v18, v55
	v_mul_f32_e32 v9, v9, v54
	v_add_f32_e32 v2, v15, v2
	v_fmac_f32_e32 v9, v8, v53
	v_mul_f32_e32 v11, v11, v52
	v_fma_f32 v13, v16, v3, -v4
	v_add_f32_e32 v2, v9, v2
	v_fmac_f32_e32 v11, v10, v51
	v_add_f32_e32 v3, v11, v2
	v_sub_f32_e32 v2, v12, v13
	v_sub_f32_e32 v6, v7, v5
	v_add_f32_e32 v2, v2, v6
	v_add_f32_e32 v6, v13, v5
	v_fma_f32 v6, -0.5, v6, v1
	v_sub_f32_e32 v16, v15, v9
	v_mov_b32_e32 v8, v6
	v_fmac_f32_e32 v8, 0x3f737871, v16
	v_sub_f32_e32 v17, v14, v11
	v_fmac_f32_e32 v6, 0xbf737871, v16
	v_fmac_f32_e32 v8, 0xbf167918, v17
	;; [unrolled: 1-line block ×3, first 2 shown]
	v_add_f32_e32 v4, v13, v1
	v_fmac_f32_e32 v8, 0x3e9e377a, v2
	v_fmac_f32_e32 v6, 0x3e9e377a, v2
	v_sub_f32_e32 v2, v13, v12
	v_sub_f32_e32 v10, v5, v7
	v_add_f32_e32 v4, v12, v4
	v_add_f32_e32 v2, v2, v10
	;; [unrolled: 1-line block ×4, first 2 shown]
	v_fmac_f32_e32 v1, -0.5, v10
	v_add_f32_e32 v4, v5, v4
	v_mov_b32_e32 v10, v1
	v_sub_f32_e32 v13, v13, v5
	v_add_f32_e32 v5, v14, v11
	v_fmac_f32_e32 v10, 0xbf737871, v17
	v_fmac_f32_e32 v1, 0x3f737871, v17
	v_fma_f32 v5, -0.5, v5, v0
	v_fmac_f32_e32 v10, 0xbf167918, v16
	v_fmac_f32_e32 v1, 0x3f167918, v16
	v_sub_f32_e32 v12, v12, v7
	v_mov_b32_e32 v7, v5
	v_fmac_f32_e32 v10, 0x3e9e377a, v2
	v_fmac_f32_e32 v1, 0x3e9e377a, v2
	v_sub_f32_e32 v2, v15, v14
	v_sub_f32_e32 v16, v9, v11
	v_fmac_f32_e32 v7, 0xbf737871, v12
	v_fmac_f32_e32 v5, 0x3f737871, v12
	v_sub_f32_e32 v11, v11, v9
	v_add_f32_e32 v9, v15, v9
	v_add_f32_e32 v2, v2, v16
	v_fmac_f32_e32 v7, 0x3f167918, v13
	v_fmac_f32_e32 v5, 0xbf167918, v13
	v_fmac_f32_e32 v0, -0.5, v9
	v_fmac_f32_e32 v7, 0x3e9e377a, v2
	v_fmac_f32_e32 v5, 0x3e9e377a, v2
	v_sub_f32_e32 v2, v14, v15
	v_mov_b32_e32 v9, v0
	v_fmac_f32_e32 v0, 0xbf737871, v13
	v_add_f32_e32 v2, v2, v11
	v_fmac_f32_e32 v0, 0xbf167918, v12
	v_fmac_f32_e32 v9, 0x3f737871, v13
	;; [unrolled: 1-line block ×4, first 2 shown]
	ds_write2_b64 v57, v[3:4], v[0:1] offset0:55 offset1:132
	v_add_u32_e32 v0, 0x400, v57
	v_fmac_f32_e32 v9, 0x3e9e377a, v2
	ds_write2_b64 v0, v[5:6], v[7:8] offset0:81 offset1:158
	ds_write_b64 v57, v[9:10] offset:2904
.LBB0_21:
	s_or_b64 exec, exec, s[2:3]
	s_waitcnt lgkmcnt(0)
	; wave barrier
	s_waitcnt lgkmcnt(0)
	s_and_b64 exec, exec, vcc
	s_cbranch_execz .LBB0_23
; %bb.22:
	global_load_dwordx2 v[8:9], v57, s[8:9]
	global_load_dwordx2 v[10:11], v57, s[8:9] offset:280
	global_load_dwordx2 v[12:13], v57, s[8:9] offset:560
	;; [unrolled: 1-line block ×4, first 2 shown]
	ds_read_b64 v[18:19], v57
	ds_read2_b64 v[0:3], v57 offset0:35 offset1:70
	ds_read2_b64 v[4:7], v57 offset0:105 offset1:140
	global_load_dwordx2 v[24:25], v57, s[8:9] offset:1400
	global_load_dwordx2 v[26:27], v57, s[8:9] offset:1680
	v_mad_u64_u32 v[20:21], s[0:1], s6, v48, 0
	v_mad_u64_u32 v[22:23], s[2:3], s4, v58, 0
	s_mul_i32 s3, s5, 0x118
	s_mul_hi_u32 s6, s4, 0x118
	s_add_i32 s3, s6, s3
	v_mad_u64_u32 v[28:29], s[6:7], s7, v48, v[21:22]
	s_mul_i32 s2, s4, 0x118
	v_mov_b32_e32 v31, s11
	v_mov_b32_e32 v21, v28
	v_lshlrev_b64 v[20:21], 3, v[20:21]
	v_mov_b32_e32 v32, s3
	v_add_co_u32_e32 v20, vcc, s10, v20
	v_addc_co_u32_e32 v21, vcc, v31, v21, vcc
	s_mov_b32 s0, 0xe6bb82fe
	s_mov_b32 s1, 0x3f654725
	s_waitcnt vmcnt(5) lgkmcnt(1)
	v_mul_f32_e32 v31, v1, v11
	v_mul_f32_e32 v11, v0, v11
	s_waitcnt vmcnt(3) lgkmcnt(0)
	v_mul_f32_e32 v33, v5, v15
	v_mul_f32_e32 v15, v4, v15
	s_waitcnt vmcnt(2)
	v_mul_f32_e32 v34, v7, v17
	v_mul_f32_e32 v17, v6, v17
	s_waitcnt vmcnt(1)
	v_mad_u64_u32 v[29:30], s[4:5], s5, v58, v[23:24]
	v_mov_b32_e32 v30, s3
	v_fmac_f32_e32 v31, v0, v10
	v_mov_b32_e32 v23, v29
	v_lshlrev_b64 v[22:23], 3, v[22:23]
	v_fma_f32 v10, v10, v1, -v11
	v_add_co_u32_e32 v20, vcc, v20, v22
	v_addc_co_u32_e32 v21, vcc, v21, v23, vcc
	v_add_co_u32_e32 v22, vcc, s2, v20
	v_addc_co_u32_e32 v23, vcc, v21, v30, vcc
	v_mul_f32_e32 v30, v19, v9
	v_mul_f32_e32 v9, v18, v9
	v_fmac_f32_e32 v30, v18, v8
	v_fma_f32 v18, v8, v19, -v9
	global_load_dwordx2 v[8:9], v57, s[8:9] offset:1960
	v_add_co_u32_e32 v28, vcc, s2, v22
	v_addc_co_u32_e32 v29, vcc, v23, v32, vcc
	v_mul_f32_e32 v32, v3, v13
	v_mul_f32_e32 v13, v2, v13
	v_fmac_f32_e32 v32, v2, v12
	v_fma_f32 v12, v12, v3, -v13
	v_cvt_f64_f32_e32 v[0:1], v30
	v_cvt_f64_f32_e32 v[2:3], v18
	v_fmac_f32_e32 v33, v4, v14
	v_fma_f32 v19, v14, v5, -v15
	v_fmac_f32_e32 v34, v6, v16
	v_fma_f32 v35, v16, v7, -v17
	v_cvt_f64_f32_e32 v[4:5], v31
	global_load_dwordx2 v[30:31], v57, s[8:9] offset:2240
	v_cvt_f64_f32_e32 v[6:7], v10
	v_cvt_f64_f32_e32 v[10:11], v32
	;; [unrolled: 1-line block ×3, first 2 shown]
	v_mul_f64 v[0:1], v[0:1], s[0:1]
	v_mul_f64 v[2:3], v[2:3], s[0:1]
	;; [unrolled: 1-line block ×6, first 2 shown]
	v_cvt_f64_f32_e32 v[14:15], v33
	v_cvt_f64_f32_e32 v[16:17], v19
	v_cvt_f32_f64_e32 v0, v[0:1]
	v_cvt_f32_f64_e32 v1, v[2:3]
	v_cvt_f32_f64_e32 v2, v[4:5]
	v_cvt_f32_f64_e32 v3, v[6:7]
	v_cvt_f64_f32_e32 v[18:19], v34
	v_cvt_f32_f64_e32 v4, v[10:11]
	v_cvt_f32_f64_e32 v5, v[12:13]
	v_mul_f64 v[14:15], v[14:15], s[0:1]
	v_mul_f64 v[16:17], v[16:17], s[0:1]
	global_store_dwordx2 v[20:21], v[0:1], off
	global_store_dwordx2 v[22:23], v[2:3], off
	;; [unrolled: 1-line block ×3, first 2 shown]
	v_cvt_f64_f32_e32 v[0:1], v35
	v_mul_f64 v[4:5], v[18:19], s[0:1]
	global_load_dwordx2 v[10:11], v57, s[8:9] offset:2520
	v_mov_b32_e32 v18, s3
	v_mul_f64 v[12:13], v[0:1], s[0:1]
	ds_read2_b64 v[0:3], v57 offset0:175 offset1:210
	v_cvt_f32_f64_e32 v6, v[14:15]
	v_cvt_f32_f64_e32 v7, v[16:17]
	v_mov_b32_e32 v15, s3
	v_add_co_u32_e32 v14, vcc, s2, v28
	v_cvt_f32_f64_e32 v4, v[4:5]
	s_waitcnt lgkmcnt(0)
	v_mul_f32_e32 v5, v1, v25
	v_addc_co_u32_e32 v15, vcc, v29, v15, vcc
	v_fmac_f32_e32 v5, v0, v24
	global_store_dwordx2 v[14:15], v[6:7], off
	v_cvt_f64_f32_e32 v[6:7], v5
	v_cvt_f32_f64_e32 v5, v[12:13]
	global_load_dwordx2 v[12:13], v57, s[8:9] offset:2800
	v_mul_f32_e32 v0, v0, v25
	v_fma_f32 v0, v24, v1, -v0
	v_cvt_f64_f32_e32 v[0:1], v0
	v_mov_b32_e32 v16, s3
	v_mul_f64 v[6:7], v[6:7], s[0:1]
	v_add_co_u32_e32 v14, vcc, s2, v14
	v_mul_f64 v[0:1], v[0:1], s[0:1]
	v_addc_co_u32_e32 v15, vcc, v15, v16, vcc
	global_store_dwordx2 v[14:15], v[4:5], off
	s_waitcnt vmcnt(9)
	v_mul_f32_e32 v5, v3, v27
	v_fmac_f32_e32 v5, v2, v26
	v_mul_f32_e32 v2, v2, v27
	v_fma_f32 v2, v26, v3, -v2
	v_cvt_f64_f32_e32 v[2:3], v2
	v_cvt_f32_f64_e32 v4, v[6:7]
	v_cvt_f64_f32_e32 v[6:7], v5
	v_cvt_f32_f64_e32 v5, v[0:1]
	v_add_u32_e32 v0, 0x400, v57
	v_mul_f64 v[16:17], v[2:3], s[0:1]
	ds_read2_b64 v[0:3], v0 offset0:117 offset1:152
	v_add_co_u32_e32 v14, vcc, s2, v14
	v_addc_co_u32_e32 v15, vcc, v15, v18, vcc
	global_store_dwordx2 v[14:15], v[4:5], off
	s_waitcnt vmcnt(9) lgkmcnt(0)
	v_mul_f32_e32 v4, v1, v9
	v_fmac_f32_e32 v4, v0, v8
	v_cvt_f64_f32_e32 v[4:5], v4
	v_mul_f64 v[6:7], v[6:7], s[0:1]
	v_mul_f32_e32 v0, v0, v9
	v_fma_f32 v0, v8, v1, -v0
	v_mul_f64 v[4:5], v[4:5], s[0:1]
	v_cvt_f64_f32_e32 v[0:1], v0
	v_add_co_u32_e32 v8, vcc, s2, v14
	v_cvt_f32_f64_e32 v6, v[6:7]
	v_cvt_f32_f64_e32 v7, v[16:17]
	v_mul_f64 v[0:1], v[0:1], s[0:1]
	v_mov_b32_e32 v16, s3
	v_cvt_f32_f64_e32 v4, v[4:5]
	s_waitcnt vmcnt(8)
	v_mul_f32_e32 v5, v3, v31
	v_addc_co_u32_e32 v9, vcc, v15, v16, vcc
	v_fmac_f32_e32 v5, v2, v30
	global_store_dwordx2 v[8:9], v[6:7], off
	v_cvt_f64_f32_e32 v[6:7], v5
	v_mul_f32_e32 v2, v2, v31
	v_fma_f32 v2, v30, v3, -v2
	v_cvt_f64_f32_e32 v[2:3], v2
	v_mul_f64 v[6:7], v[6:7], s[0:1]
	v_cvt_f32_f64_e32 v5, v[0:1]
	v_mov_b32_e32 v0, s3
	v_add_co_u32_e32 v8, vcc, s2, v8
	v_addc_co_u32_e32 v9, vcc, v9, v0, vcc
	v_add_u32_e32 v0, 0x800, v57
	v_mul_f64 v[14:15], v[2:3], s[0:1]
	ds_read2_b64 v[0:3], v0 offset0:59 offset1:94
	global_store_dwordx2 v[8:9], v[4:5], off
	v_cvt_f32_f64_e32 v4, v[6:7]
	v_add_co_u32_e32 v8, vcc, s2, v8
	s_waitcnt vmcnt(6) lgkmcnt(0)
	v_mul_f32_e32 v6, v1, v11
	v_fmac_f32_e32 v6, v0, v10
	v_mul_f32_e32 v0, v0, v11
	v_fma_f32 v0, v10, v1, -v0
	v_cvt_f32_f64_e32 v5, v[14:15]
	v_cvt_f64_f32_e32 v[6:7], v6
	v_cvt_f64_f32_e32 v[0:1], v0
	v_mov_b32_e32 v14, s3
	v_addc_co_u32_e32 v9, vcc, v9, v14, vcc
	global_store_dwordx2 v[8:9], v[4:5], off
	v_mul_f64 v[4:5], v[6:7], s[0:1]
	v_mul_f64 v[0:1], v[0:1], s[0:1]
	s_waitcnt vmcnt(5)
	v_mul_f32_e32 v6, v3, v13
	v_fmac_f32_e32 v6, v2, v12
	v_mul_f32_e32 v2, v2, v13
	v_fma_f32 v2, v12, v3, -v2
	v_cvt_f64_f32_e32 v[6:7], v6
	v_cvt_f64_f32_e32 v[2:3], v2
	v_cvt_f32_f64_e32 v4, v[4:5]
	v_cvt_f32_f64_e32 v5, v[0:1]
	v_mul_f64 v[0:1], v[6:7], s[0:1]
	v_mul_f64 v[2:3], v[2:3], s[0:1]
	v_mov_b32_e32 v7, s3
	v_add_co_u32_e32 v6, vcc, s2, v8
	v_addc_co_u32_e32 v7, vcc, v9, v7, vcc
	global_store_dwordx2 v[6:7], v[4:5], off
	v_cvt_f32_f64_e32 v0, v[0:1]
	v_cvt_f32_f64_e32 v1, v[2:3]
	v_mov_b32_e32 v3, s3
	v_add_co_u32_e32 v2, vcc, s2, v6
	v_addc_co_u32_e32 v3, vcc, v7, v3, vcc
	global_store_dwordx2 v[2:3], v[0:1], off
.LBB0_23:
	s_endpgm
	.section	.rodata,"a",@progbits
	.p2align	6, 0x0
	.amdhsa_kernel bluestein_single_fwd_len385_dim1_sp_op_CI_CI
		.amdhsa_group_segment_fixed_size 3080
		.amdhsa_private_segment_fixed_size 0
		.amdhsa_kernarg_size 104
		.amdhsa_user_sgpr_count 6
		.amdhsa_user_sgpr_private_segment_buffer 1
		.amdhsa_user_sgpr_dispatch_ptr 0
		.amdhsa_user_sgpr_queue_ptr 0
		.amdhsa_user_sgpr_kernarg_segment_ptr 1
		.amdhsa_user_sgpr_dispatch_id 0
		.amdhsa_user_sgpr_flat_scratch_init 0
		.amdhsa_user_sgpr_private_segment_size 0
		.amdhsa_uses_dynamic_stack 0
		.amdhsa_system_sgpr_private_segment_wavefront_offset 0
		.amdhsa_system_sgpr_workgroup_id_x 1
		.amdhsa_system_sgpr_workgroup_id_y 0
		.amdhsa_system_sgpr_workgroup_id_z 0
		.amdhsa_system_sgpr_workgroup_info 0
		.amdhsa_system_vgpr_workitem_id 0
		.amdhsa_next_free_vgpr 149
		.amdhsa_next_free_sgpr 17
		.amdhsa_reserve_vcc 1
		.amdhsa_reserve_flat_scratch 0
		.amdhsa_float_round_mode_32 0
		.amdhsa_float_round_mode_16_64 0
		.amdhsa_float_denorm_mode_32 3
		.amdhsa_float_denorm_mode_16_64 3
		.amdhsa_dx10_clamp 1
		.amdhsa_ieee_mode 1
		.amdhsa_fp16_overflow 0
		.amdhsa_exception_fp_ieee_invalid_op 0
		.amdhsa_exception_fp_denorm_src 0
		.amdhsa_exception_fp_ieee_div_zero 0
		.amdhsa_exception_fp_ieee_overflow 0
		.amdhsa_exception_fp_ieee_underflow 0
		.amdhsa_exception_fp_ieee_inexact 0
		.amdhsa_exception_int_div_zero 0
	.end_amdhsa_kernel
	.text
.Lfunc_end0:
	.size	bluestein_single_fwd_len385_dim1_sp_op_CI_CI, .Lfunc_end0-bluestein_single_fwd_len385_dim1_sp_op_CI_CI
                                        ; -- End function
	.section	.AMDGPU.csdata,"",@progbits
; Kernel info:
; codeLenInByte = 10672
; NumSgprs: 21
; NumVgprs: 149
; ScratchSize: 0
; MemoryBound: 0
; FloatMode: 240
; IeeeMode: 1
; LDSByteSize: 3080 bytes/workgroup (compile time only)
; SGPRBlocks: 2
; VGPRBlocks: 37
; NumSGPRsForWavesPerEU: 21
; NumVGPRsForWavesPerEU: 149
; Occupancy: 1
; WaveLimiterHint : 1
; COMPUTE_PGM_RSRC2:SCRATCH_EN: 0
; COMPUTE_PGM_RSRC2:USER_SGPR: 6
; COMPUTE_PGM_RSRC2:TRAP_HANDLER: 0
; COMPUTE_PGM_RSRC2:TGID_X_EN: 1
; COMPUTE_PGM_RSRC2:TGID_Y_EN: 0
; COMPUTE_PGM_RSRC2:TGID_Z_EN: 0
; COMPUTE_PGM_RSRC2:TIDIG_COMP_CNT: 0
	.type	__hip_cuid_dd1e3949b1a9c499,@object ; @__hip_cuid_dd1e3949b1a9c499
	.section	.bss,"aw",@nobits
	.globl	__hip_cuid_dd1e3949b1a9c499
__hip_cuid_dd1e3949b1a9c499:
	.byte	0                               ; 0x0
	.size	__hip_cuid_dd1e3949b1a9c499, 1

	.ident	"AMD clang version 19.0.0git (https://github.com/RadeonOpenCompute/llvm-project roc-6.4.0 25133 c7fe45cf4b819c5991fe208aaa96edf142730f1d)"
	.section	".note.GNU-stack","",@progbits
	.addrsig
	.addrsig_sym __hip_cuid_dd1e3949b1a9c499
	.amdgpu_metadata
---
amdhsa.kernels:
  - .args:
      - .actual_access:  read_only
        .address_space:  global
        .offset:         0
        .size:           8
        .value_kind:     global_buffer
      - .actual_access:  read_only
        .address_space:  global
        .offset:         8
        .size:           8
        .value_kind:     global_buffer
      - .actual_access:  read_only
        .address_space:  global
        .offset:         16
        .size:           8
        .value_kind:     global_buffer
      - .actual_access:  read_only
        .address_space:  global
        .offset:         24
        .size:           8
        .value_kind:     global_buffer
      - .actual_access:  read_only
        .address_space:  global
        .offset:         32
        .size:           8
        .value_kind:     global_buffer
      - .offset:         40
        .size:           8
        .value_kind:     by_value
      - .address_space:  global
        .offset:         48
        .size:           8
        .value_kind:     global_buffer
      - .address_space:  global
        .offset:         56
        .size:           8
        .value_kind:     global_buffer
      - .address_space:  global
        .offset:         64
        .size:           8
        .value_kind:     global_buffer
      - .address_space:  global
        .offset:         72
        .size:           8
        .value_kind:     global_buffer
      - .offset:         80
        .size:           4
        .value_kind:     by_value
      - .address_space:  global
        .offset:         88
        .size:           8
        .value_kind:     global_buffer
      - .address_space:  global
        .offset:         96
        .size:           8
        .value_kind:     global_buffer
    .group_segment_fixed_size: 3080
    .kernarg_segment_align: 8
    .kernarg_segment_size: 104
    .language:       OpenCL C
    .language_version:
      - 2
      - 0
    .max_flat_workgroup_size: 55
    .name:           bluestein_single_fwd_len385_dim1_sp_op_CI_CI
    .private_segment_fixed_size: 0
    .sgpr_count:     21
    .sgpr_spill_count: 0
    .symbol:         bluestein_single_fwd_len385_dim1_sp_op_CI_CI.kd
    .uniform_work_group_size: 1
    .uses_dynamic_stack: false
    .vgpr_count:     149
    .vgpr_spill_count: 0
    .wavefront_size: 64
amdhsa.target:   amdgcn-amd-amdhsa--gfx906
amdhsa.version:
  - 1
  - 2
...

	.end_amdgpu_metadata
